;; amdgpu-corpus repo=ROCm/rocFFT kind=compiled arch=gfx1201 opt=O3
	.text
	.amdgcn_target "amdgcn-amd-amdhsa--gfx1201"
	.amdhsa_code_object_version 6
	.protected	fft_rtc_fwd_len1122_factors_17_11_6_wgs_204_tpt_102_halfLds_dp_op_CI_CI_unitstride_sbrr_R2C_dirReg ; -- Begin function fft_rtc_fwd_len1122_factors_17_11_6_wgs_204_tpt_102_halfLds_dp_op_CI_CI_unitstride_sbrr_R2C_dirReg
	.globl	fft_rtc_fwd_len1122_factors_17_11_6_wgs_204_tpt_102_halfLds_dp_op_CI_CI_unitstride_sbrr_R2C_dirReg
	.p2align	8
	.type	fft_rtc_fwd_len1122_factors_17_11_6_wgs_204_tpt_102_halfLds_dp_op_CI_CI_unitstride_sbrr_R2C_dirReg,@function
fft_rtc_fwd_len1122_factors_17_11_6_wgs_204_tpt_102_halfLds_dp_op_CI_CI_unitstride_sbrr_R2C_dirReg: ; @fft_rtc_fwd_len1122_factors_17_11_6_wgs_204_tpt_102_halfLds_dp_op_CI_CI_unitstride_sbrr_R2C_dirReg
; %bb.0:
	s_clause 0x2
	s_load_b128 s[8:11], s[0:1], 0x0
	s_load_b128 s[4:7], s[0:1], 0x58
	;; [unrolled: 1-line block ×3, first 2 shown]
	v_mul_u32_u24_e32 v1, 0x283, v0
	v_mov_b32_e32 v3, 0
	s_delay_alu instid0(VALU_DEP_2) | instskip(SKIP_2) | instid1(VALU_DEP_4)
	v_lshrrev_b32_e32 v7, 16, v1
	v_mov_b32_e32 v1, 0
	v_mov_b32_e32 v2, 0
	;; [unrolled: 1-line block ×3, first 2 shown]
	s_delay_alu instid0(VALU_DEP_4) | instskip(SKIP_2) | instid1(VALU_DEP_1)
	v_lshl_add_u32 v5, ttmp9, 1, v7
	s_wait_kmcnt 0x0
	v_cmp_lt_u64_e64 s2, s[10:11], 2
	s_and_b32 vcc_lo, exec_lo, s2
	s_cbranch_vccnz .LBB0_8
; %bb.1:
	s_load_b64 s[2:3], s[0:1], 0x10
	v_mov_b32_e32 v1, 0
	v_mov_b32_e32 v2, 0
	s_add_nc_u64 s[16:17], s[14:15], 8
	s_add_nc_u64 s[18:19], s[12:13], 8
	s_mov_b64 s[20:21], 1
	s_delay_alu instid0(VALU_DEP_1)
	v_dual_mov_b32 v73, v2 :: v_dual_mov_b32 v72, v1
	s_wait_kmcnt 0x0
	s_add_nc_u64 s[22:23], s[2:3], 8
	s_mov_b32 s3, 0
.LBB0_2:                                ; =>This Inner Loop Header: Depth=1
	s_load_b64 s[24:25], s[22:23], 0x0
                                        ; implicit-def: $vgpr76_vgpr77
	s_mov_b32 s2, exec_lo
	s_wait_kmcnt 0x0
	v_or_b32_e32 v4, s25, v6
	s_delay_alu instid0(VALU_DEP_1)
	v_cmpx_ne_u64_e32 0, v[3:4]
	s_wait_alu 0xfffe
	s_xor_b32 s26, exec_lo, s2
	s_cbranch_execz .LBB0_4
; %bb.3:                                ;   in Loop: Header=BB0_2 Depth=1
	s_cvt_f32_u32 s2, s24
	s_cvt_f32_u32 s27, s25
	s_sub_nc_u64 s[30:31], 0, s[24:25]
	s_wait_alu 0xfffe
	s_delay_alu instid0(SALU_CYCLE_1) | instskip(SKIP_1) | instid1(SALU_CYCLE_2)
	s_fmamk_f32 s2, s27, 0x4f800000, s2
	s_wait_alu 0xfffe
	v_s_rcp_f32 s2, s2
	s_delay_alu instid0(TRANS32_DEP_1) | instskip(SKIP_1) | instid1(SALU_CYCLE_2)
	s_mul_f32 s2, s2, 0x5f7ffffc
	s_wait_alu 0xfffe
	s_mul_f32 s27, s2, 0x2f800000
	s_wait_alu 0xfffe
	s_delay_alu instid0(SALU_CYCLE_2) | instskip(SKIP_1) | instid1(SALU_CYCLE_2)
	s_trunc_f32 s27, s27
	s_wait_alu 0xfffe
	s_fmamk_f32 s2, s27, 0xcf800000, s2
	s_cvt_u32_f32 s29, s27
	s_wait_alu 0xfffe
	s_delay_alu instid0(SALU_CYCLE_1) | instskip(SKIP_1) | instid1(SALU_CYCLE_2)
	s_cvt_u32_f32 s28, s2
	s_wait_alu 0xfffe
	s_mul_u64 s[34:35], s[30:31], s[28:29]
	s_wait_alu 0xfffe
	s_mul_hi_u32 s37, s28, s35
	s_mul_i32 s36, s28, s35
	s_mul_hi_u32 s2, s28, s34
	s_mul_i32 s33, s29, s34
	s_wait_alu 0xfffe
	s_add_nc_u64 s[36:37], s[2:3], s[36:37]
	s_mul_hi_u32 s27, s29, s34
	s_mul_hi_u32 s38, s29, s35
	s_add_co_u32 s2, s36, s33
	s_wait_alu 0xfffe
	s_add_co_ci_u32 s2, s37, s27
	s_mul_i32 s34, s29, s35
	s_add_co_ci_u32 s35, s38, 0
	s_wait_alu 0xfffe
	s_add_nc_u64 s[34:35], s[2:3], s[34:35]
	s_wait_alu 0xfffe
	v_add_co_u32 v4, s2, s28, s34
	s_delay_alu instid0(VALU_DEP_1) | instskip(SKIP_1) | instid1(VALU_DEP_1)
	s_cmp_lg_u32 s2, 0
	s_add_co_ci_u32 s29, s29, s35
	v_readfirstlane_b32 s28, v4
	s_wait_alu 0xfffe
	s_delay_alu instid0(VALU_DEP_1)
	s_mul_u64 s[30:31], s[30:31], s[28:29]
	s_wait_alu 0xfffe
	s_mul_hi_u32 s35, s28, s31
	s_mul_i32 s34, s28, s31
	s_mul_hi_u32 s2, s28, s30
	s_mul_i32 s33, s29, s30
	s_wait_alu 0xfffe
	s_add_nc_u64 s[34:35], s[2:3], s[34:35]
	s_mul_hi_u32 s27, s29, s30
	s_mul_hi_u32 s28, s29, s31
	s_wait_alu 0xfffe
	s_add_co_u32 s2, s34, s33
	s_add_co_ci_u32 s2, s35, s27
	s_mul_i32 s30, s29, s31
	s_add_co_ci_u32 s31, s28, 0
	s_wait_alu 0xfffe
	s_add_nc_u64 s[30:31], s[2:3], s[30:31]
	s_wait_alu 0xfffe
	v_add_co_u32 v4, s2, v4, s30
	s_delay_alu instid0(VALU_DEP_1) | instskip(SKIP_1) | instid1(VALU_DEP_1)
	s_cmp_lg_u32 s2, 0
	s_add_co_ci_u32 s2, s29, s31
	v_mul_hi_u32 v14, v5, v4
	s_wait_alu 0xfffe
	v_mad_co_u64_u32 v[8:9], null, v5, s2, 0
	v_mad_co_u64_u32 v[10:11], null, v6, v4, 0
	;; [unrolled: 1-line block ×3, first 2 shown]
	s_delay_alu instid0(VALU_DEP_3) | instskip(SKIP_1) | instid1(VALU_DEP_4)
	v_add_co_u32 v4, vcc_lo, v14, v8
	s_wait_alu 0xfffd
	v_add_co_ci_u32_e32 v8, vcc_lo, 0, v9, vcc_lo
	s_delay_alu instid0(VALU_DEP_2) | instskip(SKIP_1) | instid1(VALU_DEP_2)
	v_add_co_u32 v4, vcc_lo, v4, v10
	s_wait_alu 0xfffd
	v_add_co_ci_u32_e32 v4, vcc_lo, v8, v11, vcc_lo
	s_wait_alu 0xfffd
	v_add_co_ci_u32_e32 v8, vcc_lo, 0, v13, vcc_lo
	s_delay_alu instid0(VALU_DEP_2) | instskip(SKIP_1) | instid1(VALU_DEP_2)
	v_add_co_u32 v4, vcc_lo, v4, v12
	s_wait_alu 0xfffd
	v_add_co_ci_u32_e32 v10, vcc_lo, 0, v8, vcc_lo
	s_delay_alu instid0(VALU_DEP_2) | instskip(SKIP_1) | instid1(VALU_DEP_3)
	v_mul_lo_u32 v11, s25, v4
	v_mad_co_u64_u32 v[8:9], null, s24, v4, 0
	v_mul_lo_u32 v12, s24, v10
	s_delay_alu instid0(VALU_DEP_2) | instskip(NEXT) | instid1(VALU_DEP_2)
	v_sub_co_u32 v8, vcc_lo, v5, v8
	v_add3_u32 v9, v9, v12, v11
	s_delay_alu instid0(VALU_DEP_1) | instskip(SKIP_1) | instid1(VALU_DEP_1)
	v_sub_nc_u32_e32 v11, v6, v9
	s_wait_alu 0xfffd
	v_subrev_co_ci_u32_e64 v11, s2, s25, v11, vcc_lo
	v_add_co_u32 v12, s2, v4, 2
	s_wait_alu 0xf1ff
	v_add_co_ci_u32_e64 v13, s2, 0, v10, s2
	v_sub_co_u32 v14, s2, v8, s24
	v_sub_co_ci_u32_e32 v9, vcc_lo, v6, v9, vcc_lo
	s_wait_alu 0xf1ff
	v_subrev_co_ci_u32_e64 v11, s2, 0, v11, s2
	s_delay_alu instid0(VALU_DEP_3) | instskip(NEXT) | instid1(VALU_DEP_3)
	v_cmp_le_u32_e32 vcc_lo, s24, v14
	v_cmp_eq_u32_e64 s2, s25, v9
	s_wait_alu 0xfffd
	v_cndmask_b32_e64 v14, 0, -1, vcc_lo
	v_cmp_le_u32_e32 vcc_lo, s25, v11
	s_wait_alu 0xfffd
	v_cndmask_b32_e64 v15, 0, -1, vcc_lo
	v_cmp_le_u32_e32 vcc_lo, s24, v8
	;; [unrolled: 3-line block ×3, first 2 shown]
	s_wait_alu 0xfffd
	v_cndmask_b32_e64 v16, 0, -1, vcc_lo
	v_cmp_eq_u32_e32 vcc_lo, s25, v11
	s_wait_alu 0xf1ff
	s_delay_alu instid0(VALU_DEP_2)
	v_cndmask_b32_e64 v8, v16, v8, s2
	s_wait_alu 0xfffd
	v_cndmask_b32_e32 v11, v15, v14, vcc_lo
	v_add_co_u32 v14, vcc_lo, v4, 1
	s_wait_alu 0xfffd
	v_add_co_ci_u32_e32 v15, vcc_lo, 0, v10, vcc_lo
	s_delay_alu instid0(VALU_DEP_3) | instskip(SKIP_2) | instid1(VALU_DEP_3)
	v_cmp_ne_u32_e32 vcc_lo, 0, v11
	s_wait_alu 0xfffd
	v_cndmask_b32_e32 v11, v14, v12, vcc_lo
	v_cndmask_b32_e32 v9, v15, v13, vcc_lo
	v_cmp_ne_u32_e32 vcc_lo, 0, v8
	s_wait_alu 0xfffd
	s_delay_alu instid0(VALU_DEP_2)
	v_dual_cndmask_b32 v76, v4, v11 :: v_dual_cndmask_b32 v77, v10, v9
.LBB0_4:                                ;   in Loop: Header=BB0_2 Depth=1
	s_wait_alu 0xfffe
	s_and_not1_saveexec_b32 s2, s26
	s_cbranch_execz .LBB0_6
; %bb.5:                                ;   in Loop: Header=BB0_2 Depth=1
	v_cvt_f32_u32_e32 v4, s24
	s_sub_co_i32 s26, 0, s24
	v_mov_b32_e32 v77, v3
	s_delay_alu instid0(VALU_DEP_2) | instskip(NEXT) | instid1(TRANS32_DEP_1)
	v_rcp_iflag_f32_e32 v4, v4
	v_mul_f32_e32 v4, 0x4f7ffffe, v4
	s_delay_alu instid0(VALU_DEP_1) | instskip(SKIP_1) | instid1(VALU_DEP_1)
	v_cvt_u32_f32_e32 v4, v4
	s_wait_alu 0xfffe
	v_mul_lo_u32 v8, s26, v4
	s_delay_alu instid0(VALU_DEP_1) | instskip(NEXT) | instid1(VALU_DEP_1)
	v_mul_hi_u32 v8, v4, v8
	v_add_nc_u32_e32 v4, v4, v8
	s_delay_alu instid0(VALU_DEP_1) | instskip(NEXT) | instid1(VALU_DEP_1)
	v_mul_hi_u32 v4, v5, v4
	v_mul_lo_u32 v8, v4, s24
	s_delay_alu instid0(VALU_DEP_1) | instskip(NEXT) | instid1(VALU_DEP_1)
	v_sub_nc_u32_e32 v8, v5, v8
	v_subrev_nc_u32_e32 v10, s24, v8
	v_cmp_le_u32_e32 vcc_lo, s24, v8
	s_wait_alu 0xfffd
	s_delay_alu instid0(VALU_DEP_2) | instskip(NEXT) | instid1(VALU_DEP_1)
	v_dual_cndmask_b32 v8, v8, v10 :: v_dual_add_nc_u32 v9, 1, v4
	v_cndmask_b32_e32 v4, v4, v9, vcc_lo
	s_delay_alu instid0(VALU_DEP_2) | instskip(NEXT) | instid1(VALU_DEP_2)
	v_cmp_le_u32_e32 vcc_lo, s24, v8
	v_add_nc_u32_e32 v9, 1, v4
	s_wait_alu 0xfffd
	s_delay_alu instid0(VALU_DEP_1)
	v_cndmask_b32_e32 v76, v4, v9, vcc_lo
.LBB0_6:                                ;   in Loop: Header=BB0_2 Depth=1
	s_wait_alu 0xfffe
	s_or_b32 exec_lo, exec_lo, s2
	v_mul_lo_u32 v4, v77, s24
	s_delay_alu instid0(VALU_DEP_2)
	v_mul_lo_u32 v10, v76, s25
	s_load_b64 s[26:27], s[18:19], 0x0
	v_mad_co_u64_u32 v[8:9], null, v76, s24, 0
	s_load_b64 s[24:25], s[16:17], 0x0
	s_add_nc_u64 s[20:21], s[20:21], 1
	s_add_nc_u64 s[16:17], s[16:17], 8
	s_wait_alu 0xfffe
	v_cmp_ge_u64_e64 s2, s[20:21], s[10:11]
	s_add_nc_u64 s[18:19], s[18:19], 8
	s_add_nc_u64 s[22:23], s[22:23], 8
	v_add3_u32 v4, v9, v10, v4
	v_sub_co_u32 v5, vcc_lo, v5, v8
	s_wait_alu 0xfffd
	s_delay_alu instid0(VALU_DEP_2) | instskip(SKIP_2) | instid1(VALU_DEP_1)
	v_sub_co_ci_u32_e32 v4, vcc_lo, v6, v4, vcc_lo
	s_and_b32 vcc_lo, exec_lo, s2
	s_wait_kmcnt 0x0
	v_mul_lo_u32 v6, s26, v4
	v_mul_lo_u32 v8, s27, v5
	v_mad_co_u64_u32 v[1:2], null, s26, v5, v[1:2]
	v_mul_lo_u32 v4, s24, v4
	v_mul_lo_u32 v9, s25, v5
	v_mad_co_u64_u32 v[72:73], null, s24, v5, v[72:73]
	s_delay_alu instid0(VALU_DEP_4) | instskip(NEXT) | instid1(VALU_DEP_2)
	v_add3_u32 v2, v8, v2, v6
	v_add3_u32 v73, v9, v73, v4
	s_wait_alu 0xfffe
	s_cbranch_vccnz .LBB0_9
; %bb.7:                                ;   in Loop: Header=BB0_2 Depth=1
	v_dual_mov_b32 v5, v76 :: v_dual_mov_b32 v6, v77
	s_branch .LBB0_2
.LBB0_8:
	v_dual_mov_b32 v73, v2 :: v_dual_mov_b32 v72, v1
	v_dual_mov_b32 v77, v6 :: v_dual_mov_b32 v76, v5
.LBB0_9:
	s_load_b64 s[0:1], s[0:1], 0x28
	v_and_b32_e32 v4, 1, v7
	v_mul_hi_u32 v3, 0x2828283, v0
                                        ; implicit-def: $vgpr74
	s_wait_kmcnt 0x0
	v_cmp_gt_u64_e32 vcc_lo, s[0:1], v[76:77]
	v_cmp_le_u64_e64 s1, s[0:1], v[76:77]
	v_cmp_eq_u32_e64 s0, 1, v4
	s_delay_alu instid0(VALU_DEP_2)
	s_and_saveexec_b32 s2, s1
	s_wait_alu 0xfffe
	s_xor_b32 s1, exec_lo, s2
; %bb.10:
	v_mul_u32_u24_e32 v1, 0x66, v3
                                        ; implicit-def: $vgpr3
	s_delay_alu instid0(VALU_DEP_1)
	v_sub_nc_u32_e32 v74, v0, v1
                                        ; implicit-def: $vgpr0
                                        ; implicit-def: $vgpr1_vgpr2
; %bb.11:
	s_wait_alu 0xfffe
	s_or_saveexec_b32 s1, s1
	v_cndmask_b32_e64 v4, 0, 0x463, s0
	s_lshl_b64 s[2:3], s[10:11], 3
	s_delay_alu instid0(VALU_DEP_1)
	v_lshlrev_b32_e32 v177, 4, v4
	s_wait_alu 0xfffe
	s_xor_b32 exec_lo, exec_lo, s1
	s_cbranch_execz .LBB0_13
; %bb.12:
	s_add_nc_u64 s[10:11], s[12:13], s[2:3]
	v_lshlrev_b64_e32 v[1:2], 4, v[1:2]
	s_load_b64 s[10:11], s[10:11], 0x0
	s_wait_kmcnt 0x0
	v_mul_lo_u32 v6, s11, v76
	v_mul_lo_u32 v7, s10, v77
	v_mad_co_u64_u32 v[4:5], null, s10, v76, 0
	s_delay_alu instid0(VALU_DEP_1) | instskip(SKIP_1) | instid1(VALU_DEP_2)
	v_add3_u32 v5, v5, v7, v6
	v_mul_u32_u24_e32 v6, 0x66, v3
	v_lshlrev_b64_e32 v[3:4], 4, v[4:5]
	s_delay_alu instid0(VALU_DEP_2) | instskip(NEXT) | instid1(VALU_DEP_1)
	v_sub_nc_u32_e32 v74, v0, v6
	v_lshlrev_b32_e32 v44, 4, v74
	s_delay_alu instid0(VALU_DEP_3) | instskip(SKIP_1) | instid1(VALU_DEP_4)
	v_add_co_u32 v0, s0, s4, v3
	s_wait_alu 0xf1ff
	v_add_co_ci_u32_e64 v3, s0, s5, v4, s0
	s_delay_alu instid0(VALU_DEP_2) | instskip(SKIP_1) | instid1(VALU_DEP_2)
	v_add_co_u32 v0, s0, v0, v1
	s_wait_alu 0xf1ff
	v_add_co_ci_u32_e64 v1, s0, v3, v2, s0
	s_delay_alu instid0(VALU_DEP_2) | instskip(SKIP_1) | instid1(VALU_DEP_2)
	v_add_co_u32 v40, s0, v0, v44
	s_wait_alu 0xf1ff
	v_add_co_ci_u32_e64 v41, s0, 0, v1, s0
	s_clause 0xa
	global_load_b128 v[0:3], v[40:41], off
	global_load_b128 v[4:7], v[40:41], off offset:1632
	global_load_b128 v[8:11], v[40:41], off offset:3264
	;; [unrolled: 1-line block ×10, first 2 shown]
	v_add3_u32 v44, 0, v177, v44
	s_wait_loadcnt 0xa
	ds_store_b128 v44, v[0:3]
	s_wait_loadcnt 0x9
	ds_store_b128 v44, v[4:7] offset:1632
	s_wait_loadcnt 0x8
	ds_store_b128 v44, v[8:11] offset:3264
	;; [unrolled: 2-line block ×10, first 2 shown]
.LBB0_13:
	s_or_b32 exec_lo, exec_lo, s1
	v_lshlrev_b32_e32 v75, 4, v74
	global_wb scope:SCOPE_SE
	s_wait_dscnt 0x0
	s_barrier_signal -1
	s_barrier_wait -1
	global_inv scope:SCOPE_SE
	v_add3_u32 v176, 0, v75, v177
	v_add_nc_u32_e32 v174, 0, v177
	s_mov_b32 s4, 0x6c9a05f6
	s_mov_b32 s5, 0xbfe9895b
	;; [unrolled: 1-line block ×3, first 2 shown]
	ds_load_b128 v[4:7], v176 offset:16896
	ds_load_b128 v[48:51], v176 offset:1056
	v_add_nc_u32_e32 v175, v174, v75
	s_mov_b32 s18, 0x923c349f
	s_mov_b32 s11, 0xbfe348c8
	;; [unrolled: 1-line block ×4, first 2 shown]
	ds_load_b128 v[44:47], v175
	ds_load_b128 v[8:11], v176 offset:15840
	ds_load_b128 v[64:67], v176 offset:2112
	ds_load_b128 v[68:71], v176 offset:3168
	ds_load_b128 v[12:15], v176 offset:14784
	ds_load_b128 v[16:19], v176 offset:13728
	ds_load_b128 v[60:63], v176 offset:4224
	s_mov_b32 s12, 0x5d8e7cdc
	s_mov_b32 s23, 0xbfd183b1
	s_mov_b32 s13, 0xbfd71e95
	ds_load_b128 v[52:55], v176 offset:5280
	ds_load_b128 v[20:23], v176 offset:12672
	s_mov_b32 s16, 0x370991
	s_mov_b32 s20, 0x4363dd80
	;; [unrolled: 1-line block ×6, first 2 shown]
	s_wait_dscnt 0x9
	v_add_f64_e64 v[154:155], v[50:51], -v[6:7]
	v_add_f64_e64 v[146:147], v[48:49], -v[4:5]
	v_add_f64_e32 v[144:145], v[48:49], v[4:5]
	v_add_f64_e32 v[162:163], v[50:51], v[6:7]
	s_mov_b32 s25, 0xbfeb34fa
	s_mov_b32 s27, 0x3fefdd0d
	;; [unrolled: 1-line block ×3, first 2 shown]
	s_wait_dscnt 0x6
	v_add_f64_e64 v[120:121], v[66:67], -v[10:11]
	v_add_f64_e64 v[98:99], v[64:65], -v[8:9]
	v_add_f64_e32 v[90:91], v[64:65], v[8:9]
	s_wait_dscnt 0x4
	v_add_f64_e64 v[102:103], v[70:71], -v[14:15]
	v_add_f64_e32 v[128:129], v[66:67], v[10:11]
	v_add_f64_e64 v[78:79], v[68:69], -v[12:13]
	v_add_f64_e32 v[112:113], v[68:69], v[12:13]
	v_add_f64_e32 v[132:133], v[70:71], v[14:15]
	s_wait_dscnt 0x2
	v_add_f64_e64 v[116:117], v[62:63], -v[18:19]
	v_add_f64_e64 v[94:95], v[60:61], -v[16:17]
	v_add_f64_e32 v[100:101], v[60:61], v[16:17]
	v_add_f64_e32 v[126:127], v[62:63], v[18:19]
	s_wait_dscnt 0x0
	v_add_f64_e64 v[104:105], v[54:55], -v[22:23]
	v_add_f64_e64 v[86:87], v[52:53], -v[20:21]
	v_add_f64_e32 v[110:111], v[52:53], v[20:21]
	v_add_f64_e32 v[130:131], v[54:55], v[22:23]
	s_mov_b32 s28, 0x2a9d6da3
	s_mov_b32 s31, 0x3fb79ee6
	;; [unrolled: 1-line block ×13, first 2 shown]
	s_add_nc_u64 s[2:3], s[14:15], s[2:3]
	s_mov_b32 s33, exec_lo
	s_wait_alu 0xfffe
	v_mul_f64_e32 v[150:151], s[4:5], v[154:155]
	v_mul_f64_e32 v[152:153], s[4:5], v[146:147]
	;; [unrolled: 1-line block ×10, first 2 shown]
	v_fma_f64 v[0:1], v[144:145], s[10:11], v[150:151]
	v_fma_f64 v[2:3], v[162:163], s[10:11], -v[152:153]
	v_fma_f64 v[24:25], v[90:91], s[22:23], v[138:139]
	v_fma_f64 v[26:27], v[128:129], s[22:23], -v[140:141]
	;; [unrolled: 2-line block ×5, first 2 shown]
	v_add_f64_e32 v[0:1], v[44:45], v[0:1]
	v_add_f64_e32 v[2:3], v[46:47], v[2:3]
	s_delay_alu instid0(VALU_DEP_2) | instskip(NEXT) | instid1(VALU_DEP_2)
	v_add_f64_e32 v[0:1], v[24:25], v[0:1]
	v_add_f64_e32 v[2:3], v[26:27], v[2:3]
	ds_load_b128 v[24:27], v176 offset:11616
	ds_load_b128 v[56:59], v176 offset:6336
	;; [unrolled: 1-line block ×4, first 2 shown]
	s_wait_dscnt 0x2
	v_add_f64_e64 v[114:115], v[58:59], -v[26:27]
	v_add_f64_e64 v[88:89], v[56:57], -v[24:25]
	v_add_f64_e32 v[96:97], v[56:57], v[24:25]
	v_add_f64_e32 v[122:123], v[58:59], v[26:27]
	s_wait_dscnt 0x0
	v_add_f64_e64 v[106:107], v[38:39], -v[30:31]
	v_add_f64_e64 v[82:83], v[36:37], -v[28:29]
	v_add_f64_e32 v[92:93], v[36:37], v[28:29]
	v_add_f64_e32 v[124:125], v[38:39], v[30:31]
	;; [unrolled: 1-line block ×4, first 2 shown]
	v_mul_f64_e32 v[160:161], s[28:29], v[114:115]
	v_mul_f64_e32 v[164:165], s[28:29], v[88:89]
	;; [unrolled: 1-line block ×4, first 2 shown]
	v_add_f64_e32 v[0:1], v[40:41], v[0:1]
	v_add_f64_e32 v[2:3], v[42:43], v[2:3]
	ds_load_b128 v[40:43], v176 offset:8448
	ds_load_b128 v[32:35], v176 offset:9504
	global_wb scope:SCOPE_SE
	s_wait_dscnt 0x0
	s_barrier_signal -1
	s_barrier_wait -1
	global_inv scope:SCOPE_SE
	v_add_f64_e64 v[108:109], v[42:43], -v[34:35]
	v_add_f64_e64 v[80:81], v[40:41], -v[32:33]
	v_fma_f64 v[178:179], v[96:97], s[38:39], v[160:161]
	v_fma_f64 v[180:181], v[122:123], s[38:39], -v[164:165]
	v_fma_f64 v[182:183], v[92:93], s[36:37], v[166:167]
	v_fma_f64 v[184:185], v[124:125], s[36:37], -v[170:171]
	v_add_f64_e32 v[0:1], v[84:85], v[0:1]
	v_add_f64_e32 v[2:3], v[118:119], v[2:3]
	;; [unrolled: 1-line block ×4, first 2 shown]
	v_mul_f64_e32 v[168:169], s[42:43], v[108:109]
	v_mul_f64_e32 v[172:173], s[42:43], v[80:81]
	v_add_f64_e32 v[0:1], v[178:179], v[0:1]
	v_add_f64_e32 v[2:3], v[180:181], v[2:3]
	s_delay_alu instid0(VALU_DEP_4) | instskip(NEXT) | instid1(VALU_DEP_4)
	v_fma_f64 v[178:179], v[84:85], s[40:41], v[168:169]
	v_fma_f64 v[180:181], v[118:119], s[40:41], -v[172:173]
	s_delay_alu instid0(VALU_DEP_4) | instskip(NEXT) | instid1(VALU_DEP_4)
	v_add_f64_e32 v[0:1], v[182:183], v[0:1]
	v_add_f64_e32 v[2:3], v[184:185], v[2:3]
	s_delay_alu instid0(VALU_DEP_2) | instskip(NEXT) | instid1(VALU_DEP_2)
	v_add_f64_e32 v[0:1], v[178:179], v[0:1]
	v_add_f64_e32 v[2:3], v[180:181], v[2:3]
	v_cmpx_gt_u32_e32 0x42, v74
	s_cbranch_execz .LBB0_15
; %bb.14:
	v_add_f64_e32 v[50:51], v[46:47], v[50:51]
	v_add_f64_e32 v[48:49], v[44:45], v[48:49]
	s_mov_b32 s49, 0xbfefdd0d
	s_mov_b32 s48, s26
	;; [unrolled: 1-line block ×6, first 2 shown]
	v_mul_f64_e32 v[178:179], s[10:11], v[162:163]
	v_mul_f64_e32 v[180:181], s[10:11], v[144:145]
	;; [unrolled: 1-line block ×10, first 2 shown]
	s_mov_b32 s15, 0x3fe0d888
	s_mov_b32 s14, s20
	;; [unrolled: 1-line block ×8, first 2 shown]
	v_mul_f64_e32 v[220:221], s[40:41], v[118:119]
	s_mov_b32 s55, 0x3fe9895b
	s_mov_b32 s54, s4
	v_mul_f64_e32 v[226:227], s[30:31], v[130:131]
	v_mul_f64_e32 v[224:225], s[38:39], v[122:123]
	;; [unrolled: 1-line block ×3, first 2 shown]
	v_add_f64_e32 v[50:51], v[50:51], v[66:67]
	v_add_f64_e32 v[48:49], v[48:49], v[64:65]
	v_mul_f64_e32 v[64:65], s[36:37], v[162:163]
	v_mul_f64_e32 v[66:67], s[34:35], v[154:155]
	v_add_f64_e32 v[152:153], v[152:153], v[178:179]
	v_add_f64_e64 v[150:151], v[180:181], -v[150:151]
	v_fma_f64 v[178:179], v[146:147], s[18:19], v[182:183]
	v_fma_f64 v[180:181], v[146:147], s[52:53], v[182:183]
	;; [unrolled: 1-line block ×9, first 2 shown]
	v_fma_f64 v[190:191], v[144:145], s[38:39], -v[190:191]
	v_fma_f64 v[210:211], v[144:145], s[16:17], v[192:193]
	v_fma_f64 v[212:213], v[144:145], s[30:31], v[196:197]
	v_fma_f64 v[196:197], v[144:145], s[30:31], -v[196:197]
	v_add_f64_e32 v[158:159], v[158:159], v[226:227]
	v_add_f64_e32 v[164:165], v[164:165], v[224:225]
	;; [unrolled: 1-line block ×5, first 2 shown]
	v_mul_f64_e32 v[68:69], s[24:25], v[162:163]
	v_mul_f64_e32 v[70:71], s[20:21], v[154:155]
	;; [unrolled: 1-line block ×4, first 2 shown]
	v_add_f64_e32 v[152:153], v[46:47], v[152:153]
	v_add_f64_e32 v[150:151], v[44:45], v[150:151]
	;; [unrolled: 1-line block ×9, first 2 shown]
	s_wait_alu 0xfffe
	v_fma_f64 v[60:61], v[146:147], s[0:1], v[64:65]
	v_fma_f64 v[62:63], v[144:145], s[36:37], v[66:67]
	;; [unrolled: 1-line block ×3, first 2 shown]
	v_fma_f64 v[66:67], v[144:145], s[36:37], -v[66:67]
	v_fma_f64 v[198:199], v[146:147], s[14:15], v[68:69]
	v_fma_f64 v[200:201], v[144:145], s[24:25], v[70:71]
	;; [unrolled: 1-line block ×3, first 2 shown]
	v_fma_f64 v[70:71], v[144:145], s[24:25], -v[70:71]
	v_fma_f64 v[208:209], v[146:147], s[44:45], v[162:163]
	v_fma_f64 v[146:147], v[146:147], s[12:13], v[162:163]
	v_fma_f64 v[162:163], v[144:145], s[16:17], -v[192:193]
	v_fma_f64 v[192:193], v[144:145], s[22:23], v[194:195]
	v_fma_f64 v[214:215], v[144:145], s[40:41], v[154:155]
	v_fma_f64 v[154:155], v[144:145], s[40:41], -v[154:155]
	v_fma_f64 v[194:195], v[144:145], s[22:23], -v[194:195]
	v_add_f64_e32 v[216:217], v[50:51], v[54:55]
	v_add_f64_e32 v[54:55], v[44:45], v[190:191]
	;; [unrolled: 1-line block ×16, first 2 shown]
	v_mul_f64_e32 v[46:47], s[24:25], v[126:127]
	v_mul_f64_e32 v[154:155], s[16:17], v[132:133]
	v_mul_f64_e32 v[190:191], s[22:23], v[128:129]
	v_mul_f64_e32 v[192:193], s[40:41], v[84:85]
	v_add_f64_e32 v[218:219], v[48:49], v[52:53]
	v_add_f64_e32 v[200:201], v[44:45], v[200:201]
	;; [unrolled: 1-line block ×10, first 2 shown]
	v_mul_f64_e32 v[172:173], s[36:37], v[92:93]
	v_mul_f64_e32 v[194:195], s[38:39], v[96:97]
	;; [unrolled: 1-line block ×8, first 2 shown]
	v_add_f64_e32 v[58:59], v[216:217], v[58:59]
	v_mul_f64_e32 v[216:217], s[46:47], v[116:117]
	v_add_f64_e32 v[148:149], v[148:149], v[46:47]
	v_add_f64_e32 v[142:143], v[142:143], v[154:155]
	v_mul_f64_e32 v[154:155], s[22:23], v[90:91]
	v_add_f64_e32 v[140:141], v[140:141], v[190:191]
	v_mul_f64_e32 v[190:191], s[40:41], v[128:129]
	v_add_f64_e64 v[46:47], v[192:193], -v[168:169]
	v_mul_f64_e32 v[168:169], s[42:43], v[120:121]
	v_add_f64_e32 v[56:57], v[218:219], v[56:57]
	v_add_f64_e64 v[166:167], v[172:173], -v[166:167]
	v_add_f64_e64 v[160:161], v[194:195], -v[160:161]
	v_fma_f64 v[172:173], v[98:99], s[12:13], v[196:197]
	v_fma_f64 v[192:193], v[90:91], s[16:17], v[204:205]
	v_add_f64_e64 v[156:157], v[206:207], -v[156:157]
	v_fma_f64 v[194:195], v[98:99], s[44:45], v[196:197]
	v_mul_f64_e32 v[196:197], s[24:25], v[132:133]
	v_fma_f64 v[204:205], v[90:91], s[16:17], -v[204:205]
	v_add_f64_e32 v[38:39], v[58:59], v[38:39]
	v_mul_f64_e32 v[58:59], s[18:19], v[102:103]
	v_add_f64_e64 v[138:139], v[154:155], -v[138:139]
	v_add_f64_e32 v[140:141], v[140:141], v[152:153]
	v_fma_f64 v[154:155], v[98:99], s[50:51], v[190:191]
	v_fma_f64 v[190:191], v[98:99], s[42:43], v[190:191]
	;; [unrolled: 1-line block ×3, first 2 shown]
	v_fma_f64 v[168:169], v[90:91], s[40:41], -v[168:169]
	v_fma_f64 v[152:153], v[78:79], s[26:27], v[210:211]
	v_fma_f64 v[210:211], v[78:79], s[48:49], v[210:211]
	v_add_f64_e32 v[36:37], v[56:57], v[36:37]
	v_add_f64_e32 v[172:173], v[172:173], v[228:229]
	;; [unrolled: 1-line block ×4, first 2 shown]
	v_fma_f64 v[212:213], v[78:79], s[14:15], v[196:197]
	v_add_f64_e32 v[204:205], v[204:205], v[234:235]
	v_fma_f64 v[196:197], v[78:79], s[20:21], v[196:197]
	v_add_f64_e32 v[38:39], v[38:39], v[42:43]
	v_add_f64_e32 v[138:139], v[138:139], v[150:151]
	;; [unrolled: 1-line block ×4, first 2 shown]
	v_mul_f64_e32 v[198:199], s[48:49], v[102:103]
	v_add_f64_e32 v[200:201], v[206:207], v[200:201]
	v_fma_f64 v[206:207], v[112:113], s[24:25], v[208:209]
	v_add_f64_e32 v[190:191], v[190:191], v[236:237]
	v_add_f64_e32 v[168:169], v[168:169], v[238:239]
	v_fma_f64 v[208:209], v[112:113], s[24:25], -v[208:209]
	v_add_f64_e32 v[36:37], v[36:37], v[40:41]
	v_mul_f64_e32 v[40:41], s[36:37], v[132:133]
	v_add_f64_e32 v[172:173], v[212:213], v[172:173]
	v_add_f64_e32 v[194:195], v[196:197], v[194:195]
	v_mul_f64_e32 v[196:197], s[54:55], v[116:117]
	v_add_f64_e32 v[34:35], v[38:39], v[34:35]
	v_add_f64_e32 v[140:141], v[148:149], v[140:141]
	v_add_f64_e32 v[152:153], v[152:153], v[154:155]
	v_fma_f64 v[212:213], v[112:113], s[30:31], v[198:199]
	v_fma_f64 v[198:199], v[112:113], s[30:31], -v[198:199]
	v_add_f64_e32 v[192:193], v[206:207], v[192:193]
	v_mul_f64_e32 v[206:207], s[10:11], v[126:127]
	v_fma_f64 v[154:155], v[100:101], s[38:39], v[216:217]
	v_add_f64_e32 v[204:205], v[208:209], v[204:205]
	v_fma_f64 v[208:209], v[94:95], s[28:29], v[214:215]
	v_fma_f64 v[214:215], v[94:95], s[46:47], v[214:215]
	v_add_f64_e32 v[190:191], v[210:211], v[190:191]
	v_fma_f64 v[216:217], v[100:101], s[38:39], -v[216:217]
	v_add_f64_e32 v[32:33], v[36:37], v[32:33]
	v_mul_f64_e32 v[36:37], s[10:11], v[132:133]
	v_fma_f64 v[142:143], v[100:101], s[10:11], v[196:197]
	v_fma_f64 v[196:197], v[100:101], s[10:11], -v[196:197]
	v_add_f64_e32 v[30:31], v[34:35], v[30:31]
	v_mul_f64_e32 v[34:35], s[26:27], v[108:109]
	v_add_f64_e32 v[140:141], v[158:159], v[140:141]
	v_mul_f64_e32 v[158:159], s[34:35], v[104:105]
	;; [unrolled: 2-line block ×3, first 2 shown]
	v_add_f64_e32 v[168:169], v[198:199], v[168:169]
	v_fma_f64 v[210:211], v[94:95], s[4:5], v[206:207]
	v_mul_f64_e32 v[198:199], s[14:15], v[120:121]
	v_fma_f64 v[206:207], v[94:95], s[54:55], v[206:207]
	v_add_f64_e32 v[172:173], v[208:209], v[172:173]
	v_mul_f64_e32 v[208:209], s[16:17], v[112:113]
	v_add_f64_e32 v[154:155], v[154:155], v[192:193]
	v_add_f64_e32 v[194:195], v[214:215], v[194:195]
	v_mul_f64_e32 v[214:215], s[38:39], v[132:133]
	v_add_f64_e32 v[204:205], v[216:217], v[204:205]
	v_mul_f64_e32 v[216:217], s[46:47], v[102:103]
	v_add_f64_e32 v[28:29], v[32:33], v[28:29]
	v_add_f64_e32 v[26:27], v[30:31], v[26:27]
	v_fma_f64 v[30:31], v[84:85], s[30:31], v[34:35]
	v_fma_f64 v[34:35], v[84:85], s[30:31], -v[34:35]
	v_add_f64_e32 v[140:141], v[164:165], v[140:141]
	v_add_f64_e32 v[142:143], v[142:143], v[200:201]
	v_fma_f64 v[192:193], v[98:99], s[20:21], v[212:213]
	v_mul_f64_e32 v[200:201], s[24:25], v[100:101]
	v_add_f64_e32 v[152:153], v[210:211], v[152:153]
	v_fma_f64 v[210:211], v[90:91], s[24:25], v[198:199]
	v_add_f64_e32 v[190:191], v[206:207], v[190:191]
	v_mul_f64_e32 v[206:207], s[10:11], v[130:131]
	v_add_f64_e64 v[134:135], v[208:209], -v[134:135]
	v_mul_f64_e32 v[208:209], s[4:5], v[104:105]
	v_add_f64_e32 v[168:169], v[196:197], v[168:169]
	v_fma_f64 v[198:199], v[90:91], s[24:25], -v[198:199]
	v_add_f64_e32 v[24:25], v[28:29], v[24:25]
	v_mul_f64_e32 v[28:29], s[24:25], v[130:131]
	v_add_f64_e32 v[22:23], v[26:27], v[22:23]
	v_add_f64_e32 v[140:141], v[170:171], v[140:141]
	v_mul_f64_e32 v[170:171], s[22:23], v[126:127]
	v_add_f64_e32 v[150:151], v[192:193], v[178:179]
	v_fma_f64 v[178:179], v[78:79], s[28:29], v[214:215]
	v_mul_f64_e32 v[192:193], s[40:41], v[126:127]
	v_add_f64_e32 v[146:147], v[210:211], v[146:147]
	v_fma_f64 v[210:211], v[112:113], s[38:39], v[216:217]
	v_add_f64_e64 v[136:137], v[200:201], -v[136:137]
	v_add_f64_e32 v[134:135], v[134:135], v[138:139]
	v_mul_f64_e32 v[138:139], s[16:17], v[130:131]
	v_fma_f64 v[196:197], v[110:111], s[10:11], v[208:209]
	v_mul_f64_e32 v[200:201], s[12:13], v[104:105]
	v_fma_f64 v[208:209], v[110:111], s[10:11], -v[208:209]
	v_fma_f64 v[214:215], v[78:79], s[46:47], v[214:215]
	v_add_f64_e32 v[162:163], v[198:199], v[162:163]
	v_mul_f64_e32 v[198:199], s[34:35], v[120:121]
	v_fma_f64 v[216:217], v[112:113], s[38:39], -v[216:217]
	v_add_f64_e32 v[20:21], v[24:25], v[20:21]
	v_mul_f64_e32 v[24:25], s[22:23], v[122:123]
	v_add_f64_e32 v[18:19], v[22:23], v[18:19]
	v_add_f64_e32 v[148:149], v[178:179], v[150:151]
	v_fma_f64 v[150:151], v[94:95], s[42:43], v[192:193]
	v_fma_f64 v[178:179], v[86:87], s[54:55], v[206:207]
	v_add_f64_e32 v[146:147], v[210:211], v[146:147]
	v_mul_f64_e32 v[210:211], s[50:51], v[116:117]
	v_fma_f64 v[206:207], v[86:87], s[4:5], v[206:207]
	v_add_f64_e32 v[134:135], v[136:137], v[134:135]
	v_fma_f64 v[136:137], v[86:87], s[44:45], v[138:139]
	v_add_f64_e32 v[154:155], v[196:197], v[154:155]
	;; [unrolled: 2-line block ×3, first 2 shown]
	v_mul_f64_e32 v[208:209], s[42:43], v[114:115]
	v_fma_f64 v[192:193], v[94:95], s[50:51], v[192:193]
	v_fma_f64 v[56:57], v[90:91], s[36:37], v[198:199]
	v_add_f64_e32 v[162:163], v[216:217], v[162:163]
	v_mul_f64_e32 v[216:217], s[10:11], v[128:129]
	v_fma_f64 v[198:199], v[90:91], s[36:37], -v[198:199]
	v_add_f64_e32 v[16:17], v[20:21], v[16:17]
	v_mul_f64_e32 v[20:21], s[42:43], v[106:107]
	v_add_f64_e32 v[14:15], v[18:19], v[14:15]
	v_add_f64_e32 v[148:149], v[150:151], v[148:149]
	v_mul_f64_e32 v[150:151], s[36:37], v[130:131]
	v_add_f64_e32 v[172:173], v[178:179], v[172:173]
	v_fma_f64 v[178:179], v[110:111], s[16:17], v[200:201]
	v_fma_f64 v[196:197], v[100:101], s[40:41], v[210:211]
	v_add_f64_e32 v[194:195], v[206:207], v[194:195]
	v_fma_f64 v[206:207], v[98:99], s[14:15], v[212:213]
	v_mul_f64_e32 v[212:213], s[40:41], v[122:123]
	v_fma_f64 v[200:201], v[110:111], s[16:17], -v[200:201]
	v_add_f64_e32 v[136:137], v[136:137], v[152:153]
	v_mul_f64_e32 v[152:153], s[36:37], v[122:123]
	v_add_f64_e32 v[138:139], v[138:139], v[190:191]
	v_mul_f64_e32 v[190:191], s[30:31], v[122:123]
	v_add_f64_e32 v[134:135], v[156:157], v[134:135]
	v_fma_f64 v[210:211], v[100:101], s[40:41], -v[210:211]
	v_add_f64_e32 v[56:57], v[56:57], v[186:187]
	v_fma_f64 v[186:187], v[112:113], s[22:23], v[58:59]
	v_fma_f64 v[42:43], v[98:99], s[54:55], v[216:217]
	;; [unrolled: 1-line block ×3, first 2 shown]
	v_fma_f64 v[58:59], v[112:113], s[22:23], -v[58:59]
	v_add_f64_e32 v[188:189], v[198:199], v[188:189]
	v_mul_f64_e32 v[198:199], s[50:51], v[104:105]
	v_add_f64_e32 v[12:13], v[16:17], v[12:13]
	v_fma_f64 v[16:17], v[92:93], s[40:41], -v[20:21]
	v_fma_f64 v[20:21], v[92:93], s[40:41], v[20:21]
	v_add_f64_e32 v[142:143], v[178:179], v[142:143]
	v_fma_f64 v[178:179], v[86:87], s[0:1], v[150:151]
	v_add_f64_e32 v[146:147], v[196:197], v[146:147]
	v_mul_f64_e32 v[196:197], s[34:35], v[114:115]
	v_add_f64_e32 v[180:181], v[206:207], v[180:181]
	v_fma_f64 v[206:207], v[88:89], s[50:51], v[212:213]
	v_add_f64_e32 v[168:169], v[200:201], v[168:169]
	v_fma_f64 v[200:201], v[96:97], s[40:41], v[208:209]
	v_fma_f64 v[212:213], v[88:89], s[42:43], v[212:213]
	v_fma_f64 v[208:209], v[96:97], s[40:41], -v[208:209]
	v_fma_f64 v[156:157], v[88:89], s[0:1], v[152:153]
	v_fma_f64 v[152:153], v[88:89], s[34:35], v[152:153]
	v_add_f64_e32 v[134:135], v[160:161], v[134:135]
	v_add_f64_e32 v[162:163], v[210:211], v[162:163]
	v_mul_f64_e32 v[210:211], s[4:5], v[120:121]
	v_fma_f64 v[150:151], v[86:87], s[34:35], v[150:151]
	v_add_f64_e32 v[56:57], v[186:187], v[56:57]
	v_add_f64_e32 v[42:43], v[42:43], v[202:203]
	v_mul_f64_e32 v[202:203], s[0:1], v[102:103]
	v_add_f64_e32 v[68:69], v[216:217], v[68:69]
	v_add_f64_e32 v[58:59], v[58:59], v[188:189]
	v_fma_f64 v[188:189], v[110:111], s[40:41], v[198:199]
	v_add_f64_e32 v[148:149], v[178:179], v[148:149]
	v_fma_f64 v[178:179], v[96:97], s[36:37], v[196:197]
	v_fma_f64 v[196:197], v[96:97], s[36:37], -v[196:197]
	v_add_f64_e32 v[172:173], v[206:207], v[172:173]
	v_mul_f64_e32 v[206:207], s[36:37], v[128:129]
	v_add_f64_e32 v[154:155], v[200:201], v[154:155]
	v_fma_f64 v[200:201], v[88:89], s[48:49], v[190:191]
	v_add_f64_e32 v[194:195], v[212:213], v[194:195]
	v_fma_f64 v[212:213], v[110:111], s[36:37], v[158:159]
	v_add_f64_e32 v[204:205], v[208:209], v[204:205]
	v_add_f64_e32 v[136:137], v[156:157], v[136:137]
	v_mul_f64_e32 v[156:157], s[26:27], v[114:115]
	v_add_f64_e32 v[180:181], v[214:215], v[180:181]
	v_mul_f64_e32 v[208:209], s[22:23], v[124:125]
	v_mul_f64_e32 v[214:215], s[52:53], v[106:107]
	v_add_f64_e32 v[138:139], v[152:153], v[138:139]
	v_mul_f64_e32 v[152:153], s[22:23], v[132:133]
	v_fma_f64 v[158:159], v[110:111], s[36:37], -v[158:159]
	v_fma_f64 v[190:191], v[88:89], s[26:27], v[190:191]
	v_add_f64_e32 v[134:135], v[166:167], v[134:135]
	v_mul_f64_e32 v[132:133], s[40:41], v[132:133]
	v_add_f64_e32 v[142:143], v[178:179], v[142:143]
	v_add_f64_e32 v[168:169], v[196:197], v[168:169]
	v_fma_f64 v[178:179], v[98:99], s[0:1], v[206:207]
	v_fma_f64 v[206:207], v[98:99], s[34:35], v[206:207]
	v_add_f64_e32 v[148:149], v[200:201], v[148:149]
	v_mul_f64_e32 v[200:201], s[38:39], v[124:125]
	v_add_f64_e32 v[146:147], v[212:213], v[146:147]
	v_fma_f64 v[160:161], v[96:97], s[30:31], v[156:157]
	v_add_f64_e32 v[164:165], v[192:193], v[180:181]
	v_fma_f64 v[180:181], v[82:83], s[18:19], v[208:209]
	v_fma_f64 v[192:193], v[92:93], s[22:23], v[214:215]
	;; [unrolled: 1-line block ×3, first 2 shown]
	v_mul_f64_e32 v[208:209], s[46:47], v[106:107]
	v_fma_f64 v[212:213], v[78:79], s[52:53], v[152:153]
	v_fma_f64 v[152:153], v[78:79], s[18:19], v[152:153]
	v_add_f64_e32 v[158:159], v[158:159], v[162:163]
	v_fma_f64 v[162:163], v[90:91], s[10:11], v[210:211]
	v_fma_f64 v[156:157], v[96:97], s[30:31], -v[156:157]
	v_fma_f64 v[210:211], v[90:91], s[10:11], -v[210:211]
	;; [unrolled: 1-line block ×3, first 2 shown]
	v_add_f64_e32 v[178:179], v[178:179], v[182:183]
	v_mul_f64_e32 v[182:183], s[16:17], v[126:127]
	v_add_f64_e32 v[184:185], v[206:207], v[184:185]
	v_mul_f64_e32 v[206:207], s[44:45], v[116:117]
	v_add_f64_e32 v[146:147], v[160:161], v[146:147]
	v_add_f64_e32 v[150:151], v[150:151], v[164:165]
	v_add_f64_e32 v[160:161], v[180:181], v[172:173]
	v_add_f64_e32 v[154:155], v[192:193], v[154:155]
	v_add_f64_e32 v[172:173], v[196:197], v[194:195]
	v_fma_f64 v[180:181], v[82:83], s[28:29], v[200:201]
	v_fma_f64 v[192:193], v[92:93], s[38:39], v[208:209]
	v_mul_f64_e32 v[194:195], s[40:41], v[130:131]
	v_fma_f64 v[200:201], v[82:83], s[46:47], v[200:201]
	v_fma_f64 v[164:165], v[78:79], s[34:35], v[40:41]
	;; [unrolled: 1-line block ×3, first 2 shown]
	v_add_f64_e32 v[70:71], v[210:211], v[70:71]
	v_add_f64_e32 v[156:157], v[156:157], v[158:159]
	v_fma_f64 v[158:159], v[78:79], s[4:5], v[36:37]
	v_fma_f64 v[36:37], v[78:79], s[54:55], v[36:37]
	v_add_f64_e32 v[204:205], v[214:215], v[204:205]
	v_mul_f64_e32 v[214:215], s[12:13], v[106:107]
	v_fma_f64 v[208:209], v[92:93], s[38:39], -v[208:209]
	v_add_f64_e32 v[178:179], v[212:213], v[178:179]
	v_fma_f64 v[196:197], v[94:95], s[12:13], v[182:183]
	v_mul_f64_e32 v[212:213], s[16:17], v[124:125]
	v_fma_f64 v[186:187], v[100:101], s[16:17], v[206:207]
	v_add_f64_e32 v[152:153], v[152:153], v[184:185]
	v_mul_f64_e32 v[184:185], s[48:49], v[120:121]
	v_fma_f64 v[182:183], v[94:95], s[44:45], v[182:183]
	v_mul_f64_e32 v[120:121], s[28:29], v[120:121]
	v_add_f64_e32 v[150:151], v[190:191], v[150:151]
	v_fma_f64 v[190:191], v[112:113], s[36:37], -v[202:203]
	v_fma_f64 v[206:207], v[100:101], s[16:17], -v[206:207]
	v_add_f64_e32 v[136:137], v[180:181], v[136:137]
	v_mul_f64_e32 v[180:181], s[30:31], v[128:129]
	v_add_f64_e32 v[142:143], v[192:193], v[142:143]
	v_fma_f64 v[192:193], v[86:87], s[42:43], v[194:195]
	v_add_f64_e32 v[138:139], v[200:201], v[138:139]
	v_mul_f64_e32 v[128:129], s[38:39], v[128:129]
	v_add_f64_e32 v[42:43], v[164:165], v[42:43]
	v_fma_f64 v[164:165], v[94:95], s[52:53], v[170:171]
	v_add_f64_e32 v[40:41], v[40:41], v[68:69]
	v_fma_f64 v[194:195], v[86:87], s[50:51], v[194:195]
	;; [unrolled: 2-line block ×3, first 2 shown]
	v_add_f64_e32 v[178:179], v[196:197], v[178:179]
	v_mul_f64_e32 v[196:197], s[24:25], v[122:123]
	v_fma_f64 v[200:201], v[82:83], s[44:45], v[212:213]
	v_add_f64_e32 v[56:57], v[186:187], v[56:57]
	v_fma_f64 v[186:187], v[90:91], s[30:31], -v[184:185]
	v_add_f64_e32 v[152:153], v[182:183], v[152:153]
	v_mul_f64_e32 v[182:183], s[4:5], v[102:103]
	v_mul_f64_e32 v[102:103], s[50:51], v[102:103]
	v_fma_f64 v[184:185], v[90:91], s[30:31], v[184:185]
	v_add_f64_e32 v[70:71], v[190:191], v[70:71]
	v_add_f64_e32 v[58:59], v[206:207], v[58:59]
	v_fma_f64 v[38:39], v[98:99], s[48:49], v[180:181]
	v_fma_f64 v[166:167], v[98:99], s[26:27], v[180:181]
	;; [unrolled: 1-line block ×4, first 2 shown]
	v_add_f64_e32 v[128:129], v[162:163], v[144:145]
	v_fma_f64 v[144:145], v[112:113], s[36:37], v[202:203]
	v_add_f64_e32 v[42:43], v[164:165], v[42:43]
	v_mul_f64_e32 v[164:165], s[46:47], v[104:105]
	v_mul_f64_e32 v[162:163], s[30:31], v[118:119]
	v_add_f64_e32 v[146:147], v[208:209], v[146:147]
	v_add_f64_e32 v[178:179], v[192:193], v[178:179]
	v_fma_f64 v[192:193], v[88:89], s[14:15], v[196:197]
	v_add_f64_e32 v[148:149], v[200:201], v[148:149]
	v_fma_f64 v[200:201], v[90:91], s[38:39], -v[120:121]
	v_fma_f64 v[90:91], v[90:91], s[38:39], v[120:121]
	v_mul_f64_e32 v[120:121], s[18:19], v[116:117]
	v_add_f64_e32 v[54:55], v[186:187], v[54:55]
	v_fma_f64 v[186:187], v[112:113], s[40:41], -v[102:103]
	v_add_f64_e32 v[52:53], v[184:185], v[52:53]
	v_fma_f64 v[102:103], v[112:113], s[40:41], v[102:103]
	v_fma_f64 v[184:185], v[110:111], s[40:41], -v[198:199]
	v_add_f64_e32 v[152:153], v[194:195], v[152:153]
	v_add_f64_e32 v[38:39], v[38:39], v[66:67]
	v_mul_f64_e32 v[66:67], s[36:37], v[126:127]
	v_add_f64_e32 v[62:63], v[166:167], v[62:63]
	v_fma_f64 v[166:167], v[78:79], s[50:51], v[132:133]
	v_add_f64_e32 v[64:65], v[180:181], v[64:65]
	v_mul_f64_e32 v[126:127], s[30:31], v[126:127]
	v_fma_f64 v[180:181], v[112:113], s[10:11], -v[182:183]
	v_fma_f64 v[182:183], v[112:113], s[10:11], v[182:183]
	v_fma_f64 v[78:79], v[78:79], s[42:43], v[132:133]
	v_add_f64_e32 v[50:51], v[98:99], v[50:51]
	v_add_f64_e32 v[98:99], v[144:145], v[128:129]
	v_fma_f64 v[144:145], v[94:95], s[18:19], v[170:171]
	v_mul_f64_e32 v[170:171], s[52:53], v[104:105]
	v_mul_f64_e32 v[104:105], s[14:15], v[104:105]
	v_fma_f64 v[190:191], v[88:89], s[20:21], v[196:197]
	v_add_f64_e32 v[56:57], v[188:189], v[56:57]
	v_fma_f64 v[188:189], v[92:93], s[16:17], -v[214:215]
	v_mul_f64_e32 v[132:133], s[22:23], v[118:119]
	v_mul_f64_e32 v[128:129], s[52:53], v[108:109]
	v_fma_f64 v[112:113], v[80:81], s[48:49], v[162:163]
	v_fma_f64 v[162:163], v[80:81], s[26:27], v[162:163]
	v_add_f64_e32 v[32:33], v[192:193], v[178:179]
	v_mul_f64_e32 v[178:179], s[34:35], v[116:117]
	v_add_f64_e32 v[60:61], v[200:201], v[60:61]
	v_mul_f64_e32 v[116:117], s[48:49], v[116:117]
	;; [unrolled: 2-line block ×3, first 2 shown]
	v_fma_f64 v[68:69], v[100:101], s[22:23], v[120:121]
	v_fma_f64 v[120:121], v[100:101], s[22:23], -v[120:121]
	v_mul_f64_e32 v[130:131], s[22:23], v[130:131]
	v_add_f64_e32 v[58:59], v[184:185], v[58:59]
	v_add_f64_e32 v[38:39], v[158:159], v[38:39]
	v_fma_f64 v[158:159], v[94:95], s[34:35], v[66:67]
	v_fma_f64 v[66:67], v[94:95], s[0:1], v[66:67]
	v_add_f64_e32 v[36:37], v[36:37], v[62:63]
	v_add_f64_e32 v[64:65], v[166:167], v[64:65]
	v_fma_f64 v[166:167], v[94:95], s[48:49], v[126:127]
	v_add_f64_e32 v[54:55], v[180:181], v[54:55]
	v_add_f64_e32 v[52:53], v[182:183], v[52:53]
	v_fma_f64 v[94:95], v[94:95], s[26:27], v[126:127]
	v_add_f64_e32 v[50:51], v[78:79], v[50:51]
	v_mul_f64_e32 v[182:183], s[10:11], v[118:119]
	v_add_f64_e32 v[40:41], v[144:145], v[40:41]
	v_mul_f64_e32 v[78:79], s[4:5], v[108:109]
	v_fma_f64 v[126:127], v[80:81], s[18:19], v[132:133]
	v_fma_f64 v[132:133], v[80:81], s[52:53], v[132:133]
	v_fma_f64 v[62:63], v[100:101], s[36:37], -v[178:179]
	v_add_f64_e32 v[60:61], v[186:187], v[60:61]
	v_fma_f64 v[180:181], v[100:101], s[30:31], -v[116:117]
	v_fma_f64 v[178:179], v[100:101], s[36:37], v[178:179]
	v_fma_f64 v[100:101], v[100:101], s[30:31], v[116:117]
	v_add_f64_e32 v[48:49], v[102:103], v[48:49]
	v_add_f64_e32 v[68:69], v[68:69], v[98:99]
	v_mul_f64_e32 v[98:99], s[16:17], v[122:123]
	v_fma_f64 v[144:145], v[86:87], s[28:29], v[90:91]
	v_fma_f64 v[90:91], v[86:87], s[46:47], v[90:91]
	v_mul_f64_e32 v[102:103], s[20:21], v[114:115]
	v_add_f64_e32 v[70:71], v[120:121], v[70:71]
	v_fma_f64 v[120:121], v[110:111], s[38:39], v[164:165]
	v_fma_f64 v[164:165], v[110:111], s[38:39], -v[164:165]
	v_fma_f64 v[26:27], v[86:87], s[52:53], v[130:131]
	v_add_f64_e32 v[64:65], v[166:167], v[64:65]
	v_mul_f64_e32 v[122:123], s[10:11], v[122:123]
	v_mul_f64_e32 v[166:167], s[12:13], v[114:115]
	v_add_f64_e32 v[36:37], v[66:67], v[36:37]
	v_mul_f64_e32 v[66:67], s[18:19], v[114:115]
	v_mul_f64_e32 v[114:115], s[4:5], v[114:115]
	v_add_f64_e32 v[38:39], v[158:159], v[38:39]
	v_fma_f64 v[158:159], v[86:87], s[14:15], v[28:29]
	v_fma_f64 v[28:29], v[86:87], s[20:21], v[28:29]
	;; [unrolled: 1-line block ×3, first 2 shown]
	v_add_f64_e32 v[50:51], v[94:95], v[50:51]
	v_mul_f64_e32 v[130:131], s[10:11], v[124:125]
	v_fma_f64 v[186:187], v[82:83], s[12:13], v[212:213]
	v_fma_f64 v[94:95], v[84:85], s[10:11], v[78:79]
	v_fma_f64 v[78:79], v[84:85], s[10:11], -v[78:79]
	v_fma_f64 v[116:117], v[84:85], s[22:23], v[128:129]
	v_fma_f64 v[128:129], v[84:85], s[22:23], -v[128:129]
	v_add_f64_e32 v[54:55], v[62:63], v[54:55]
	v_fma_f64 v[62:63], v[110:111], s[22:23], -v[170:171]
	v_add_f64_e32 v[60:61], v[180:181], v[60:61]
	;; [unrolled: 2-line block ×3, first 2 shown]
	v_fma_f64 v[104:105], v[110:111], s[24:25], v[104:105]
	v_fma_f64 v[110:111], v[110:111], s[22:23], v[170:171]
	v_add_f64_e32 v[48:49], v[100:101], v[48:49]
	v_add_f64_e32 v[42:43], v[144:145], v[42:43]
	v_mul_f64_e32 v[144:145], s[30:31], v[124:125]
	v_add_f64_e32 v[40:41], v[90:91], v[40:41]
	v_fma_f64 v[90:91], v[88:89], s[12:13], v[98:99]
	v_mul_f64_e32 v[100:101], s[54:55], v[106:107]
	v_fma_f64 v[184:185], v[96:97], s[24:25], v[102:103]
	v_add_f64_e32 v[68:69], v[120:121], v[68:69]
	v_mul_f64_e32 v[120:121], s[48:49], v[106:107]
	v_add_f64_e32 v[70:71], v[164:165], v[70:71]
	v_mul_f64_e32 v[164:165], s[40:41], v[124:125]
	v_mul_f64_e32 v[124:125], s[24:25], v[124:125]
	v_add_f64_e32 v[26:27], v[26:27], v[64:65]
	v_fma_f64 v[64:65], v[88:89], s[4:5], v[122:123]
	v_mul_f64_e32 v[106:107], s[20:21], v[106:107]
	v_add_f64_e32 v[38:39], v[158:159], v[38:39]
	v_fma_f64 v[158:159], v[88:89], s[18:19], v[24:25]
	v_fma_f64 v[22:23], v[96:97], s[22:23], -v[66:67]
	v_fma_f64 v[102:103], v[96:97], s[24:25], -v[102:103]
	v_fma_f64 v[98:99], v[88:89], s[44:45], v[98:99]
	v_add_f64_e32 v[28:29], v[28:29], v[36:37]
	v_fma_f64 v[24:25], v[88:89], s[52:53], v[24:25]
	v_fma_f64 v[66:67], v[96:97], s[22:23], v[66:67]
	;; [unrolled: 1-line block ×3, first 2 shown]
	v_add_f64_e32 v[50:51], v[86:87], v[50:51]
	v_fma_f64 v[86:87], v[96:97], s[10:11], v[114:115]
	v_mul_f64_e32 v[170:171], s[38:39], v[118:119]
	v_fma_f64 v[36:37], v[82:83], s[4:5], v[130:131]
	v_mul_f64_e32 v[122:123], s[24:25], v[118:119]
	v_fma_f64 v[178:179], v[80:81], s[54:55], v[182:183]
	v_add_f64_e32 v[60:61], v[62:63], v[60:61]
	v_fma_f64 v[62:63], v[96:97], s[10:11], -v[114:115]
	v_add_f64_e32 v[54:55], v[180:181], v[54:55]
	v_fma_f64 v[180:181], v[96:97], s[16:17], -v[166:167]
	v_fma_f64 v[166:167], v[96:97], s[16:17], v[166:167]
	v_add_f64_e32 v[52:53], v[104:105], v[52:53]
	v_add_f64_e32 v[48:49], v[110:111], v[48:49]
	;; [unrolled: 1-line block ×3, first 2 shown]
	v_fma_f64 v[152:153], v[82:83], s[48:49], v[144:145]
	v_add_f64_e32 v[40:41], v[90:91], v[40:41]
	v_mul_f64_e32 v[104:105], s[46:47], v[108:109]
	v_add_f64_e32 v[56:57], v[184:185], v[56:57]
	v_fma_f64 v[110:111], v[82:83], s[54:55], v[130:131]
	v_mul_f64_e32 v[130:131], s[20:21], v[108:109]
	v_mul_f64_e32 v[184:185], s[16:17], v[118:119]
	;; [unrolled: 1-line block ×5, first 2 shown]
	v_add_f64_e32 v[26:27], v[64:65], v[26:27]
	v_fma_f64 v[64:65], v[82:83], s[20:21], v[124:125]
	v_fma_f64 v[18:19], v[92:93], s[24:25], -v[106:107]
	v_fma_f64 v[96:97], v[92:93], s[10:11], v[100:101]
	v_add_f64_e32 v[38:39], v[158:159], v[38:39]
	v_fma_f64 v[158:159], v[82:83], s[42:43], v[164:165]
	v_fma_f64 v[90:91], v[92:93], s[30:31], -v[120:121]
	v_fma_f64 v[100:101], v[92:93], s[10:11], -v[100:101]
	v_add_f64_e32 v[58:59], v[102:103], v[58:59]
	v_add_f64_e32 v[42:43], v[98:99], v[42:43]
	v_fma_f64 v[98:99], v[82:83], s[50:51], v[164:165]
	v_add_f64_e32 v[24:25], v[24:25], v[28:29]
	v_add_f64_e32 v[50:51], v[88:89], v[50:51]
	v_add_f64_e32 v[88:89], v[188:189], v[156:157]
	v_add_f64_e32 v[156:157], v[12:13], v[8:9]
	v_add_f64_e32 v[102:103], v[36:37], v[32:33]
	v_fma_f64 v[32:33], v[80:81], s[46:47], v[170:171]
	v_add_f64_e32 v[12:13], v[34:35], v[204:205]
	v_add_f64_e32 v[8:9], v[30:31], v[154:155]
	;; [unrolled: 1-line block ×5, first 2 shown]
	v_fma_f64 v[62:63], v[82:83], s[26:27], v[144:145]
	v_fma_f64 v[70:71], v[92:93], s[30:31], v[120:121]
	v_add_f64_e32 v[68:69], v[166:167], v[68:69]
	v_add_f64_e32 v[28:29], v[66:67], v[52:53]
	v_fma_f64 v[52:53], v[82:83], s[14:15], v[124:125]
	v_fma_f64 v[66:67], v[92:93], s[24:25], v[106:107]
	v_add_f64_e32 v[48:49], v[86:87], v[48:49]
	v_add_f64_e32 v[40:41], v[152:153], v[40:41]
	v_add_f64_e32 v[152:153], v[14:15], v[10:11]
	v_add_f64_e32 v[86:87], v[186:187], v[150:151]
	v_fma_f64 v[106:107], v[84:85], s[38:39], v[104:105]
	v_add_f64_e32 v[36:37], v[110:111], v[114:115]
	v_fma_f64 v[144:145], v[80:81], s[34:35], v[118:119]
	v_fma_f64 v[150:151], v[84:85], s[36:37], -v[108:109]
	v_fma_f64 v[114:115], v[80:81], s[44:45], v[184:185]
	v_add_f64_e32 v[64:65], v[64:65], v[26:27]
	v_fma_f64 v[124:125], v[84:85], s[16:17], -v[190:191]
	v_add_f64_e32 v[56:57], v[96:97], v[56:57]
	v_fma_f64 v[96:97], v[84:85], s[38:39], -v[104:105]
	v_fma_f64 v[104:105], v[80:81], s[20:21], v[122:123]
	v_add_f64_e32 v[120:121], v[158:159], v[38:39]
	v_fma_f64 v[110:111], v[84:85], s[24:25], -v[130:131]
	v_add_f64_e32 v[58:59], v[100:101], v[58:59]
	v_fma_f64 v[82:83], v[80:81], s[4:5], v[182:183]
	v_fma_f64 v[92:93], v[80:81], s[28:29], v[170:171]
	v_fma_f64 v[100:101], v[84:85], s[24:25], v[130:131]
	v_add_f64_e32 v[98:99], v[98:99], v[24:25]
	v_add_f64_e32 v[26:27], v[44:45], v[140:141]
	;; [unrolled: 1-line block ×11, first 2 shown]
	v_fma_f64 v[90:91], v[80:81], s[14:15], v[122:123]
	v_add_f64_e32 v[62:63], v[62:63], v[42:43]
	v_add_f64_e32 v[68:69], v[70:71], v[68:69]
	v_fma_f64 v[70:71], v[80:81], s[12:13], v[184:185]
	v_fma_f64 v[122:123], v[84:85], s[16:17], v[190:191]
	v_add_f64_e32 v[130:131], v[20:21], v[28:29]
	v_fma_f64 v[80:81], v[80:81], s[0:1], v[118:119]
	v_add_f64_e32 v[118:119], v[52:53], v[50:51]
	;; [unrolled: 2-line block ×3, first 2 shown]
	v_add_f64_e32 v[6:7], v[152:153], v[6:7]
	v_add_f64_e32 v[34:35], v[32:33], v[36:37]
	;; [unrolled: 1-line block ×20, first 2 shown]
	v_mul_u32_u24_e32 v68, 0x110, v74
	v_add_f64_e32 v[60:61], v[122:123], v[130:131]
	v_add_f64_e32 v[66:67], v[80:81], v[118:119]
	;; [unrolled: 1-line block ×3, first 2 shown]
	s_delay_alu instid0(VALU_DEP_4)
	v_add3_u32 v68, 0, v68, v177
	ds_store_b128 v68, v[4:7]
	ds_store_b128 v68, v[48:51] offset:16
	ds_store_b128 v68, v[40:43] offset:32
	;; [unrolled: 1-line block ×16, first 2 shown]
.LBB0_15:
	s_or_b32 exec_lo, exec_lo, s33
	v_and_b32_e32 v4, 0xff, v74
	s_load_b64 s[2:3], s[2:3], 0x0
	global_wb scope:SCOPE_SE
	s_wait_dscnt 0x0
	s_wait_kmcnt 0x0
	s_barrier_signal -1
	s_barrier_wait -1
	v_mul_lo_u16 v4, 0xf1, v4
	global_inv scope:SCOPE_SE
	s_mov_b32 s20, 0xf8bb580b
	s_mov_b32 s21, 0xbfe14ced
	;; [unrolled: 1-line block ×3, first 2 shown]
	v_lshrrev_b16 v28, 12, v4
	s_mov_b32 s16, 0x8eee2c13
	s_mov_b32 s18, 0x43842ef
	;; [unrolled: 1-line block ×4, first 2 shown]
	v_mul_lo_u16 v4, v28, 17
	s_mov_b32 s23, 0xbfe82f19
	s_mov_b32 s24, 0xfd768dbf
	;; [unrolled: 1-line block ×4, first 2 shown]
	v_sub_nc_u16 v4, v74, v4
	s_mov_b32 s4, 0xd9c712b6
	s_mov_b32 s1, 0x3feaeb8c
	;; [unrolled: 1-line block ×4, first 2 shown]
	v_and_b32_e32 v29, 0xff, v4
	s_mov_b32 s11, 0xbfc2375f
	s_mov_b32 s12, 0x7f775887
	;; [unrolled: 1-line block ×3, first 2 shown]
	s_wait_alu 0xfffe
	s_mov_b32 s28, s24
	v_mul_u32_u24_e32 v4, 10, v29
	s_mov_b32 s13, 0xbfe4f49e
	s_mov_b32 s14, 0x9bcd5057
	;; [unrolled: 1-line block ×4, first 2 shown]
	v_lshlrev_b32_e32 v4, 4, v4
	s_mov_b32 s15, 0xbfeeb42a
	s_mov_b32 s27, 0x3fe14ced
	;; [unrolled: 1-line block ×3, first 2 shown]
	s_clause 0x9
	global_load_b128 v[8:11], v4, s[8:9]
	global_load_b128 v[12:15], v4, s[8:9] offset:144
	global_load_b128 v[16:19], v4, s[8:9] offset:16
	global_load_b128 v[20:23], v4, s[8:9] offset:128
	global_load_b128 v[30:33], v4, s[8:9] offset:32
	global_load_b128 v[34:37], v4, s[8:9] offset:112
	global_load_b128 v[38:41], v4, s[8:9] offset:48
	global_load_b128 v[42:45], v4, s[8:9] offset:96
	global_load_b128 v[46:49], v4, s[8:9] offset:64
	global_load_b128 v[50:53], v4, s[8:9] offset:80
	ds_load_b128 v[24:27], v176 offset:1632
	ds_load_b128 v[4:7], v175
	ds_load_b128 v[54:57], v176 offset:16320
	ds_load_b128 v[58:61], v176 offset:3264
	;; [unrolled: 1-line block ×9, first 2 shown]
	global_wb scope:SCOPE_SE
	s_wait_loadcnt_dscnt 0x0
	s_barrier_signal -1
	s_barrier_wait -1
	global_inv scope:SCOPE_SE
	v_mul_f64_e32 v[70:71], v[26:27], v[10:11]
	v_mul_f64_e32 v[10:11], v[24:25], v[10:11]
	;; [unrolled: 1-line block ×20, first 2 shown]
	v_fma_f64 v[70:71], v[24:25], v[8:9], -v[70:71]
	v_fma_f64 v[104:105], v[26:27], v[8:9], v[10:11]
	v_fma_f64 v[24:25], v[56:57], v[12:13], v[98:99]
	v_fma_f64 v[26:27], v[54:55], v[12:13], -v[14:15]
	v_fma_f64 v[54:55], v[58:59], v[16:17], -v[100:101]
	v_fma_f64 v[56:57], v[60:61], v[16:17], v[18:19]
	v_fma_f64 v[8:9], v[64:65], v[20:21], v[102:103]
	v_fma_f64 v[10:11], v[62:63], v[20:21], -v[22:23]
	;; [unrolled: 4-line block ×3, first 2 shown]
	v_fma_f64 v[32:33], v[86:87], v[38:39], -v[110:111]
	v_fma_f64 v[34:35], v[88:89], v[38:39], v[40:41]
	v_fma_f64 v[16:17], v[82:83], v[42:43], -v[112:113]
	v_fma_f64 v[18:19], v[84:85], v[42:43], v[44:45]
	;; [unrolled: 2-line block ×4, first 2 shown]
	v_add_f64_e32 v[20:21], v[4:5], v[70:71]
	v_add_f64_e32 v[22:23], v[6:7], v[104:105]
	v_add_f64_e64 v[44:45], v[104:105], -v[24:25]
	v_add_f64_e64 v[46:47], v[70:71], -v[26:27]
	v_add_f64_e32 v[62:63], v[70:71], v[26:27]
	v_add_f64_e32 v[64:65], v[104:105], v[24:25]
	v_add_f64_e64 v[48:49], v[56:57], -v[8:9]
	v_add_f64_e64 v[50:51], v[54:55], -v[10:11]
	;; [unrolled: 1-line block ×4, first 2 shown]
	v_add_f64_e32 v[68:69], v[30:31], v[12:13]
	v_add_f64_e32 v[66:67], v[58:59], v[14:15]
	;; [unrolled: 1-line block ×3, first 2 shown]
	v_add_f64_e64 v[78:79], v[34:35], -v[18:19]
	v_add_f64_e64 v[80:81], v[32:33], -v[16:17]
	v_add_f64_e32 v[82:83], v[34:35], v[18:19]
	v_add_f64_e32 v[84:85], v[36:37], v[40:41]
	v_add_f64_e64 v[90:91], v[38:39], -v[42:43]
	v_add_f64_e32 v[86:87], v[38:39], v[42:43]
	v_add_f64_e64 v[88:89], v[36:37], -v[40:41]
	v_add_f64_e32 v[20:21], v[20:21], v[54:55]
	v_add_f64_e32 v[22:23], v[22:23], v[56:57]
	v_mul_f64_e32 v[92:93], s[20:21], v[44:45]
	v_mul_f64_e32 v[94:95], s[20:21], v[46:47]
	;; [unrolled: 1-line block ×10, first 2 shown]
	v_add_f64_e32 v[54:55], v[54:55], v[10:11]
	v_add_f64_e32 v[56:57], v[56:57], v[8:9]
	v_mul_f64_e32 v[108:109], s[16:17], v[48:49]
	v_mul_f64_e32 v[110:111], s[16:17], v[50:51]
	;; [unrolled: 1-line block ×4, first 2 shown]
	s_wait_alu 0xfffe
	v_mul_f64_e32 v[116:117], s[28:29], v[48:49]
	v_mul_f64_e32 v[118:119], s[30:31], v[50:51]
	s_mov_b32 s17, 0x3fed1bb4
	v_mul_f64_e32 v[120:121], s[18:19], v[52:53]
	v_mul_f64_e32 v[122:123], s[18:19], v[60:61]
	;; [unrolled: 1-line block ×8, first 2 shown]
	s_wait_alu 0xfffe
	v_mul_f64_e32 v[52:53], s[16:17], v[52:53]
	v_mul_f64_e32 v[60:61], s[16:17], v[60:61]
	;; [unrolled: 1-line block ×9, first 2 shown]
	v_add_f64_e32 v[20:21], v[20:21], v[58:59]
	v_add_f64_e32 v[22:23], v[22:23], v[30:31]
	v_mul_f64_e32 v[30:31], s[28:29], v[50:51]
	v_mul_f64_e32 v[58:59], s[30:31], v[48:49]
	v_fma_f64 v[168:169], v[62:63], s[4:5], -v[96:97]
	v_fma_f64 v[170:171], v[64:65], s[4:5], v[98:99]
	v_fma_f64 v[172:173], v[62:63], s[10:11], -v[100:101]
	v_fma_f64 v[178:179], v[64:65], s[10:11], v[102:103]
	v_fma_f64 v[96:97], v[62:63], s[4:5], v[96:97]
	v_fma_f64 v[100:101], v[62:63], s[10:11], v[100:101]
	v_fma_f64 v[180:181], v[62:63], s[12:13], -v[104:105]
	v_fma_f64 v[182:183], v[64:65], s[12:13], v[106:107]
	v_mul_f64_e32 v[48:49], s[26:27], v[48:49]
	v_mul_f64_e32 v[50:51], s[26:27], v[50:51]
	v_fma_f64 v[184:185], v[62:63], s[14:15], -v[44:45]
	v_fma_f64 v[186:187], v[64:65], s[14:15], v[46:47]
	v_fma_f64 v[104:105], v[62:63], s[12:13], v[104:105]
	;; [unrolled: 1-line block ×3, first 2 shown]
	v_fma_f64 v[46:47], v[64:65], s[14:15], -v[46:47]
	v_fma_f64 v[106:107], v[64:65], s[12:13], -v[106:107]
	;; [unrolled: 1-line block ×5, first 2 shown]
	v_fma_f64 v[190:191], v[56:57], s[12:13], v[114:115]
	v_fma_f64 v[192:193], v[54:55], s[14:15], -v[116:117]
	v_fma_f64 v[112:113], v[54:55], s[12:13], v[112:113]
	v_fma_f64 v[116:117], v[54:55], s[14:15], v[116:117]
	;; [unrolled: 1-line block ×3, first 2 shown]
	v_fma_f64 v[118:119], v[56:57], s[10:11], -v[118:119]
	v_fma_f64 v[114:115], v[56:57], s[12:13], -v[114:115]
	v_mul_f64_e32 v[150:151], s[24:25], v[80:81]
	v_mul_f64_e32 v[152:153], s[24:25], v[90:91]
	;; [unrolled: 1-line block ×4, first 2 shown]
	v_fma_f64 v[200:201], v[66:67], s[14:15], -v[124:125]
	v_fma_f64 v[202:203], v[68:69], s[14:15], v[126:127]
	v_fma_f64 v[124:125], v[66:67], s[14:15], v[124:125]
	v_fma_f64 v[126:127], v[68:69], s[14:15], -v[126:127]
	v_add_f64_e32 v[20:21], v[20:21], v[32:33]
	v_add_f64_e32 v[22:23], v[22:23], v[34:35]
	v_fma_f64 v[32:33], v[62:63], s[0:1], -v[92:93]
	v_fma_f64 v[34:35], v[64:65], s[0:1], v[94:95]
	v_fma_f64 v[92:93], v[62:63], s[0:1], v[92:93]
	v_fma_f64 v[94:95], v[64:65], s[0:1], -v[94:95]
	v_fma_f64 v[62:63], v[54:55], s[4:5], -v[108:109]
	v_fma_f64 v[64:65], v[56:57], s[4:5], v[110:111]
	v_fma_f64 v[108:109], v[54:55], s[4:5], v[108:109]
	v_fma_f64 v[110:111], v[56:57], s[4:5], -v[110:111]
	v_add_f64_e32 v[168:169], v[4:5], v[168:169]
	v_add_f64_e32 v[170:171], v[6:7], v[170:171]
	v_fma_f64 v[194:195], v[56:57], s[14:15], v[30:31]
	v_add_f64_e32 v[172:173], v[4:5], v[172:173]
	v_add_f64_e32 v[178:179], v[6:7], v[178:179]
	v_fma_f64 v[196:197], v[54:55], s[10:11], -v[58:59]
	v_add_f64_e32 v[96:97], v[4:5], v[96:97]
	v_add_f64_e32 v[100:101], v[4:5], v[100:101]
	;; [unrolled: 1-line block ×7, first 2 shown]
	v_fma_f64 v[58:59], v[54:55], s[10:11], v[58:59]
	v_fma_f64 v[30:31], v[56:57], s[14:15], -v[30:31]
	v_add_f64_e32 v[102:103], v[6:7], v[102:103]
	v_add_f64_e32 v[98:99], v[6:7], v[98:99]
	v_fma_f64 v[204:205], v[66:67], s[0:1], -v[128:129]
	v_fma_f64 v[206:207], v[68:69], s[0:1], v[130:131]
	v_fma_f64 v[128:129], v[66:67], s[0:1], v[128:129]
	v_fma_f64 v[130:131], v[68:69], s[0:1], -v[130:131]
	v_fma_f64 v[212:213], v[66:67], s[4:5], -v[52:53]
	v_fma_f64 v[52:53], v[66:67], s[4:5], v[52:53]
	v_mul_f64_e32 v[156:157], s[26:27], v[90:91]
	v_mul_f64_e32 v[158:159], s[26:27], v[88:89]
	v_fma_f64 v[208:209], v[70:71], s[10:11], -v[140:141]
	v_fma_f64 v[210:211], v[82:83], s[10:11], v[142:143]
	v_fma_f64 v[140:141], v[70:71], s[10:11], v[140:141]
	v_add_f64_e32 v[20:21], v[20:21], v[36:37]
	v_add_f64_e32 v[22:23], v[22:23], v[38:39]
	;; [unrolled: 1-line block ×3, first 2 shown]
	v_fma_f64 v[36:37], v[54:55], s[0:1], -v[48:49]
	v_add_f64_e32 v[92:93], v[4:5], v[92:93]
	v_add_f64_e32 v[94:95], v[6:7], v[94:95]
	v_fma_f64 v[38:39], v[56:57], s[0:1], v[50:51]
	v_fma_f64 v[48:49], v[54:55], s[0:1], v[48:49]
	v_fma_f64 v[50:51], v[56:57], s[0:1], -v[50:51]
	v_add_f64_e32 v[4:5], v[4:5], v[44:45]
	v_add_f64_e32 v[44:45], v[6:7], v[46:47]
	;; [unrolled: 1-line block ×4, first 2 shown]
	v_fma_f64 v[54:55], v[66:67], s[10:11], -v[120:121]
	v_fma_f64 v[56:57], v[68:69], s[10:11], v[122:123]
	v_fma_f64 v[120:121], v[66:67], s[10:11], v[120:121]
	v_fma_f64 v[122:123], v[68:69], s[10:11], -v[122:123]
	v_fma_f64 v[34:35], v[66:67], s[12:13], -v[132:133]
	;; [unrolled: 1-line block ×3, first 2 shown]
	v_add_f64_e32 v[96:97], v[112:113], v[96:97]
	v_add_f64_e32 v[100:101], v[116:117], v[100:101]
	;; [unrolled: 1-line block ×5, first 2 shown]
	v_fma_f64 v[104:105], v[70:71], s[14:15], v[148:149]
	v_add_f64_e32 v[30:31], v[30:31], v[102:103]
	v_fma_f64 v[102:103], v[82:83], s[14:15], v[150:151]
	v_mul_f64_e32 v[160:161], s[22:23], v[90:91]
	v_mul_f64_e32 v[162:163], s[22:23], v[88:89]
	;; [unrolled: 1-line block ×7, first 2 shown]
	v_fma_f64 v[142:143], v[82:83], s[10:11], -v[142:143]
	v_add_f64_e32 v[20:21], v[20:21], v[40:41]
	v_add_f64_e32 v[22:23], v[22:23], v[42:43]
	v_fma_f64 v[40:41], v[68:69], s[12:13], v[134:135]
	v_fma_f64 v[42:43], v[66:67], s[12:13], v[132:133]
	;; [unrolled: 1-line block ×3, first 2 shown]
	v_fma_f64 v[60:61], v[68:69], s[4:5], -v[60:61]
	v_add_f64_e32 v[32:33], v[62:63], v[32:33]
	v_add_f64_e32 v[62:63], v[108:109], v[92:93]
	;; [unrolled: 1-line block ×14, first 2 shown]
	v_fma_f64 v[132:133], v[70:71], s[12:13], -v[136:137]
	v_fma_f64 v[134:135], v[82:83], s[12:13], v[138:139]
	v_fma_f64 v[136:137], v[70:71], s[12:13], v[136:137]
	v_fma_f64 v[138:139], v[82:83], s[12:13], -v[138:139]
	v_fma_f64 v[50:51], v[70:71], s[0:1], v[144:145]
	v_fma_f64 v[64:65], v[82:83], s[0:1], -v[146:147]
	v_fma_f64 v[98:99], v[70:71], s[14:15], -v[148:149]
	;; [unrolled: 1-line block ×5, first 2 shown]
	v_add_f64_e32 v[52:53], v[52:53], v[100:101]
	v_add_f64_e32 v[58:59], v[128:129], v[58:59]
	v_fma_f64 v[100:101], v[86:87], s[12:13], v[162:163]
	v_fma_f64 v[148:149], v[86:87], s[14:15], -v[154:155]
	v_add_f64_e32 v[16:17], v[20:21], v[16:17]
	v_add_f64_e32 v[18:19], v[22:23], v[18:19]
	v_fma_f64 v[20:21], v[70:71], s[0:1], -v[144:145]
	v_fma_f64 v[22:23], v[82:83], s[0:1], v[146:147]
	v_fma_f64 v[146:147], v[84:85], s[14:15], v[152:153]
	;; [unrolled: 1-line block ×4, first 2 shown]
	v_fma_f64 v[78:79], v[82:83], s[4:5], -v[80:81]
	v_add_f64_e32 v[32:33], v[54:55], v[32:33]
	v_add_f64_e32 v[54:55], v[120:121], v[62:63]
	;; [unrolled: 1-line block ×18, first 2 shown]
	v_fma_f64 v[44:45], v[84:85], s[0:1], -v[156:157]
	v_fma_f64 v[46:47], v[86:87], s[0:1], v[158:159]
	v_fma_f64 v[60:61], v[84:85], s[12:13], -v[160:161]
	v_fma_f64 v[122:123], v[84:85], s[4:5], -v[90:91]
	v_fma_f64 v[124:125], v[86:87], s[4:5], v[88:89]
	v_add_f64_e32 v[50:51], v[50:51], v[52:53]
	v_fma_f64 v[144:145], v[86:87], s[14:15], v[154:155]
	v_fma_f64 v[48:49], v[84:85], s[0:1], v[156:157]
	v_fma_f64 v[56:57], v[86:87], s[0:1], -v[158:159]
	v_fma_f64 v[108:109], v[86:87], s[12:13], -v[162:163]
	;; [unrolled: 1-line block ×3, first 2 shown]
	v_fma_f64 v[112:113], v[86:87], s[10:11], v[166:167]
	v_add_f64_e32 v[14:15], v[16:17], v[14:15]
	v_add_f64_e32 v[12:13], v[18:19], v[12:13]
	v_fma_f64 v[120:121], v[86:87], s[10:11], -v[166:167]
	v_fma_f64 v[86:87], v[86:87], s[4:5], -v[88:89]
	v_fma_f64 v[116:117], v[84:85], s[10:11], v[164:165]
	v_fma_f64 v[106:107], v[84:85], s[12:13], v[160:161]
	;; [unrolled: 1-line block ×3, first 2 shown]
	v_add_f64_e32 v[58:59], v[104:105], v[58:59]
	v_add_f64_e32 v[16:17], v[132:133], v[32:33]
	;; [unrolled: 1-line block ×19, first 2 shown]
	v_cmp_gt_u32_e64 s0, 0x55, v74
	v_add_f64_e32 v[94:95], v[14:15], v[10:11]
	v_add_f64_e32 v[96:97], v[12:13], v[8:9]
	;; [unrolled: 1-line block ×24, first 2 shown]
	v_and_b32_e32 v24, 0xffff, v28
	v_lshlrev_b32_e32 v25, 4, v29
	s_delay_alu instid0(VALU_DEP_2) | instskip(NEXT) | instid1(VALU_DEP_1)
	v_mad_u32_u24 v24, 0xbb0, v24, 0
	v_add3_u32 v24, v24, v25, v177
	ds_store_b128 v24, v[34:37] offset:544
	ds_store_b128 v24, v[38:41] offset:816
	;; [unrolled: 1-line block ×10, first 2 shown]
	ds_store_b128 v24, v[50:53]
	global_wb scope:SCOPE_SE
	s_wait_dscnt 0x0
	s_barrier_signal -1
	s_barrier_wait -1
	global_inv scope:SCOPE_SE
	ds_load_b128 v[24:27], v175
	ds_load_b128 v[36:39], v176 offset:2992
	ds_load_b128 v[28:31], v176 offset:5984
	;; [unrolled: 1-line block ×5, first 2 shown]
	s_and_saveexec_b32 s1, s0
	s_cbranch_execz .LBB0_17
; %bb.16:
	ds_load_b128 v[4:7], v176 offset:1632
	ds_load_b128 v[8:11], v176 offset:4624
	;; [unrolled: 1-line block ×6, first 2 shown]
.LBB0_17:
	s_wait_alu 0xfffe
	s_or_b32 exec_lo, exec_lo, s1
	v_mul_u32_u24_e32 v48, 5, v74
	s_mov_b32 s4, 0xe8584caa
	s_mov_b32 s5, 0x3febb67a
	;; [unrolled: 1-line block ×3, first 2 shown]
	s_wait_alu 0xfffe
	s_mov_b32 s10, s4
	v_lshlrev_b32_e32 v64, 4, v48
	s_clause 0x4
	global_load_b128 v[48:51], v64, s[8:9] offset:2752
	global_load_b128 v[52:55], v64, s[8:9] offset:2784
	;; [unrolled: 1-line block ×5, first 2 shown]
	global_wb scope:SCOPE_SE
	s_wait_loadcnt_dscnt 0x0
	s_barrier_signal -1
	s_barrier_wait -1
	global_inv scope:SCOPE_SE
	v_mul_f64_e32 v[68:69], v[42:43], v[50:51]
	v_mul_f64_e32 v[50:51], v[40:41], v[50:51]
	;; [unrolled: 1-line block ×6, first 2 shown]
	v_fma_f64 v[40:41], v[40:41], v[48:49], -v[68:69]
	v_fma_f64 v[42:43], v[42:43], v[48:49], v[50:51]
	v_fma_f64 v[46:47], v[46:47], v[52:53], v[70:71]
	v_fma_f64 v[44:45], v[44:45], v[52:53], -v[54:55]
	v_mul_f64_e32 v[48:49], v[30:31], v[62:63]
	v_mul_f64_e32 v[50:51], v[28:29], v[62:63]
	;; [unrolled: 1-line block ×4, first 2 shown]
	v_fma_f64 v[36:37], v[36:37], v[56:57], -v[78:79]
	v_fma_f64 v[38:39], v[38:39], v[56:57], v[58:59]
	v_add_f64_e32 v[56:57], v[42:43], v[46:47]
	v_add_f64_e32 v[58:59], v[40:41], v[44:45]
	v_fma_f64 v[28:29], v[28:29], v[60:61], -v[48:49]
	v_fma_f64 v[30:31], v[30:31], v[60:61], v[50:51]
	v_fma_f64 v[32:33], v[32:33], v[64:65], -v[52:53]
	v_fma_f64 v[34:35], v[34:35], v[64:65], v[54:55]
	v_add_f64_e64 v[48:49], v[42:43], -v[46:47]
	v_add_f64_e64 v[50:51], v[40:41], -v[44:45]
	v_fma_f64 v[52:53], v[56:57], -0.5, v[38:39]
	v_fma_f64 v[54:55], v[58:59], -0.5, v[36:37]
	v_add_f64_e32 v[36:37], v[36:37], v[40:41]
	v_add_f64_e32 v[38:39], v[38:39], v[42:43]
	;; [unrolled: 1-line block ×4, first 2 shown]
	s_wait_alu 0xfffe
	v_fma_f64 v[60:61], v[50:51], s[10:11], v[52:53]
	v_fma_f64 v[62:63], v[48:49], s[10:11], v[54:55]
	;; [unrolled: 1-line block ×4, first 2 shown]
	v_add_f64_e32 v[52:53], v[24:25], v[28:29]
	v_add_f64_e64 v[54:55], v[30:31], -v[34:35]
	v_add_f64_e32 v[30:31], v[26:27], v[30:31]
	v_fma_f64 v[24:25], v[56:57], -0.5, v[24:25]
	v_add_f64_e64 v[28:29], v[28:29], -v[32:33]
	v_fma_f64 v[26:27], v[58:59], -0.5, v[26:27]
	v_mul_f64_e32 v[40:41], s[4:5], v[60:61]
	v_mul_f64_e32 v[42:43], -0.5, v[62:63]
	v_mul_f64_e32 v[56:57], s[10:11], v[48:49]
	v_mul_f64_e32 v[58:59], -0.5, v[50:51]
	v_add_f64_e32 v[32:33], v[52:53], v[32:33]
	v_add_f64_e32 v[30:31], v[30:31], v[34:35]
	;; [unrolled: 1-line block ×4, first 2 shown]
	v_fma_f64 v[44:45], v[54:55], s[4:5], v[24:25]
	v_fma_f64 v[52:53], v[28:29], s[10:11], v[26:27]
	;; [unrolled: 1-line block ×4, first 2 shown]
	v_fma_f64 v[40:41], v[48:49], 0.5, v[40:41]
	v_fma_f64 v[42:43], v[50:51], s[4:5], v[42:43]
	v_fma_f64 v[48:49], v[60:61], 0.5, v[56:57]
	v_fma_f64 v[50:51], v[62:63], s[10:11], v[58:59]
	v_add_f64_e32 v[24:25], v[32:33], v[34:35]
	v_add_f64_e32 v[26:27], v[30:31], v[36:37]
	v_add_f64_e64 v[28:29], v[32:33], -v[34:35]
	v_add_f64_e64 v[30:31], v[30:31], -v[36:37]
	v_add_f64_e32 v[32:33], v[44:45], v[40:41]
	v_add_f64_e32 v[36:37], v[46:47], v[42:43]
	v_add_f64_e32 v[34:35], v[52:53], v[48:49]
	v_add_f64_e32 v[38:39], v[54:55], v[50:51]
	v_add_f64_e64 v[40:41], v[44:45], -v[40:41]
	v_add_f64_e64 v[44:45], v[46:47], -v[42:43]
	;; [unrolled: 1-line block ×4, first 2 shown]
	ds_store_b128 v176, v[24:27]
	ds_store_b128 v176, v[32:35] offset:2992
	ds_store_b128 v176, v[36:39] offset:5984
	;; [unrolled: 1-line block ×5, first 2 shown]
	s_and_saveexec_b32 s1, s0
	s_cbranch_execz .LBB0_19
; %bb.18:
	v_add_nc_u32_e32 v24, 0x66, v74
	v_add_nc_u32_e32 v25, 0xffffffab, v74
	s_delay_alu instid0(VALU_DEP_1) | instskip(SKIP_1) | instid1(VALU_DEP_2)
	v_cndmask_b32_e64 v24, v25, v24, s0
	v_mov_b32_e32 v25, 0
	v_mul_i32_i24_e32 v24, 5, v24
	s_delay_alu instid0(VALU_DEP_1) | instskip(NEXT) | instid1(VALU_DEP_1)
	v_lshlrev_b64_e32 v[24:25], 4, v[24:25]
	v_add_co_u32 v40, s0, s8, v24
	s_wait_alu 0xf1ff
	s_delay_alu instid0(VALU_DEP_2)
	v_add_co_ci_u32_e64 v41, s0, s9, v25, s0
	s_clause 0x4
	global_load_b128 v[24:27], v[40:41], off offset:2752
	global_load_b128 v[28:31], v[40:41], off offset:2784
	;; [unrolled: 1-line block ×5, first 2 shown]
	s_wait_loadcnt 0x4
	v_mul_f64_e32 v[44:45], v[20:21], v[26:27]
	s_wait_loadcnt 0x3
	v_mul_f64_e32 v[46:47], v[0:1], v[30:31]
	v_mul_f64_e32 v[26:27], v[22:23], v[26:27]
	;; [unrolled: 1-line block ×3, first 2 shown]
	s_wait_loadcnt 0x2
	v_mul_f64_e32 v[48:49], v[10:11], v[34:35]
	v_mul_f64_e32 v[34:35], v[8:9], v[34:35]
	v_fma_f64 v[22:23], v[22:23], v[24:25], v[44:45]
	v_fma_f64 v[2:3], v[2:3], v[28:29], v[46:47]
	v_fma_f64 v[20:21], v[20:21], v[24:25], -v[26:27]
	v_fma_f64 v[0:1], v[0:1], v[28:29], -v[30:31]
	s_wait_loadcnt 0x1
	v_mul_f64_e32 v[24:25], v[14:15], v[38:39]
	v_mul_f64_e32 v[26:27], v[12:13], v[38:39]
	s_wait_loadcnt 0x0
	v_mul_f64_e32 v[28:29], v[16:17], v[42:43]
	v_mul_f64_e32 v[30:31], v[18:19], v[42:43]
	v_fma_f64 v[10:11], v[10:11], v[32:33], v[34:35]
	v_fma_f64 v[8:9], v[8:9], v[32:33], -v[48:49]
	v_add_f64_e32 v[34:35], v[22:23], v[2:3]
	v_add_f64_e32 v[32:33], v[20:21], v[0:1]
	v_fma_f64 v[12:13], v[12:13], v[36:37], -v[24:25]
	v_fma_f64 v[14:15], v[14:15], v[36:37], v[26:27]
	v_fma_f64 v[18:19], v[18:19], v[40:41], v[28:29]
	v_fma_f64 v[16:17], v[16:17], v[40:41], -v[30:31]
	v_add_f64_e64 v[24:25], v[20:21], -v[0:1]
	v_add_f64_e64 v[28:29], v[22:23], -v[2:3]
	v_fma_f64 v[26:27], v[34:35], -0.5, v[10:11]
	v_add_f64_e32 v[10:11], v[10:11], v[22:23]
	v_fma_f64 v[30:31], v[32:33], -0.5, v[8:9]
	v_add_f64_e32 v[8:9], v[8:9], v[20:21]
	v_add_f64_e32 v[32:33], v[14:15], v[18:19]
	;; [unrolled: 1-line block ×3, first 2 shown]
	v_fma_f64 v[36:37], v[24:25], s[4:5], v[26:27]
	v_fma_f64 v[24:25], v[24:25], s[10:11], v[26:27]
	;; [unrolled: 1-line block ×4, first 2 shown]
	v_add_f64_e64 v[28:29], v[12:13], -v[16:17]
	v_add_f64_e32 v[30:31], v[6:7], v[14:15]
	v_add_f64_e32 v[12:13], v[4:5], v[12:13]
	v_fma_f64 v[6:7], v[32:33], -0.5, v[6:7]
	v_add_f64_e64 v[14:15], v[14:15], -v[18:19]
	v_fma_f64 v[4:5], v[34:35], -0.5, v[4:5]
	v_add_f64_e32 v[10:11], v[10:11], v[2:3]
	v_add_f64_e32 v[8:9], v[8:9], v[0:1]
	v_mul_f64_e32 v[20:21], -0.5, v[36:37]
	v_mul_f64_e32 v[32:33], s[4:5], v[24:25]
	v_mul_f64_e32 v[22:23], s[10:11], v[38:39]
	v_mul_f64_e32 v[34:35], -0.5, v[26:27]
	v_add_f64_e32 v[18:19], v[30:31], v[18:19]
	v_add_f64_e32 v[12:13], v[12:13], v[16:17]
	v_fma_f64 v[16:17], v[28:29], s[4:5], v[6:7]
	v_fma_f64 v[28:29], v[28:29], s[10:11], v[6:7]
	;; [unrolled: 1-line block ×5, first 2 shown]
	v_fma_f64 v[22:23], v[24:25], 0.5, v[22:23]
	v_fma_f64 v[24:25], v[38:39], 0.5, v[32:33]
	v_fma_f64 v[32:33], v[36:37], s[4:5], v[34:35]
	v_add_f64_e32 v[6:7], v[18:19], v[10:11]
	v_add_f64_e32 v[4:5], v[12:13], v[8:9]
	v_add_f64_e64 v[2:3], v[18:19], -v[10:11]
	v_add_f64_e64 v[0:1], v[12:13], -v[8:9]
	;; [unrolled: 1-line block ×3, first 2 shown]
	v_add_f64_e32 v[14:15], v[16:17], v[20:21]
	v_add_f64_e32 v[18:19], v[28:29], v[22:23]
	v_add_f64_e32 v[16:17], v[26:27], v[24:25]
	v_add_f64_e32 v[12:13], v[30:31], v[32:33]
	v_add_f64_e64 v[22:23], v[28:29], -v[22:23]
	v_add_f64_e64 v[20:21], v[26:27], -v[24:25]
	;; [unrolled: 1-line block ×3, first 2 shown]
	ds_store_b128 v176, v[4:7] offset:1632
	ds_store_b128 v176, v[16:19] offset:4624
	;; [unrolled: 1-line block ×6, first 2 shown]
.LBB0_19:
	s_wait_alu 0xfffe
	s_or_b32 exec_lo, exec_lo, s1
	global_wb scope:SCOPE_SE
	s_wait_dscnt 0x0
	s_barrier_signal -1
	s_barrier_wait -1
	global_inv scope:SCOPE_SE
	ds_load_b128 v[0:3], v175
	v_sub_nc_u32_e32 v10, v174, v75
	s_mov_b32 s1, exec_lo
                                        ; implicit-def: $vgpr6_vgpr7
                                        ; implicit-def: $vgpr4_vgpr5
                                        ; implicit-def: $vgpr8_vgpr9
	v_cmpx_ne_u32_e32 0, v74
	s_wait_alu 0xfffe
	s_xor_b32 s1, exec_lo, s1
	s_cbranch_execz .LBB0_21
; %bb.20:
	v_mov_b32_e32 v75, 0
	ds_load_b128 v[11:14], v10 offset:17952
	v_lshlrev_b64_e32 v[4:5], 4, v[74:75]
	s_delay_alu instid0(VALU_DEP_1) | instskip(SKIP_1) | instid1(VALU_DEP_2)
	v_add_co_u32 v4, s0, s8, v4
	s_wait_alu 0xf1ff
	v_add_co_ci_u32_e64 v5, s0, s9, v5, s0
	global_load_b128 v[6:9], v[4:5], off offset:17680
	s_wait_dscnt 0x0
	v_add_f64_e64 v[4:5], v[0:1], -v[11:12]
	v_add_f64_e32 v[15:16], v[2:3], v[13:14]
	v_add_f64_e64 v[2:3], v[2:3], -v[13:14]
	v_add_f64_e32 v[0:1], v[0:1], v[11:12]
	s_delay_alu instid0(VALU_DEP_4) | instskip(NEXT) | instid1(VALU_DEP_4)
	v_mul_f64_e32 v[4:5], 0.5, v[4:5]
	v_mul_f64_e32 v[13:14], 0.5, v[15:16]
	s_delay_alu instid0(VALU_DEP_4) | instskip(SKIP_1) | instid1(VALU_DEP_3)
	v_mul_f64_e32 v[2:3], 0.5, v[2:3]
	s_wait_loadcnt 0x0
	v_mul_f64_e32 v[11:12], v[4:5], v[8:9]
	s_delay_alu instid0(VALU_DEP_2) | instskip(SKIP_1) | instid1(VALU_DEP_3)
	v_fma_f64 v[15:16], v[13:14], v[8:9], v[2:3]
	v_fma_f64 v[2:3], v[13:14], v[8:9], -v[2:3]
	v_fma_f64 v[8:9], v[0:1], 0.5, v[11:12]
	v_fma_f64 v[0:1], v[0:1], 0.5, -v[11:12]
	s_delay_alu instid0(VALU_DEP_4) | instskip(NEXT) | instid1(VALU_DEP_4)
	v_fma_f64 v[11:12], -v[6:7], v[4:5], v[15:16]
	v_fma_f64 v[2:3], -v[6:7], v[4:5], v[2:3]
	ds_store_b64 v175, v[11:12] offset:8
	ds_store_b64 v10, v[2:3] offset:17960
	v_fma_f64 v[4:5], v[13:14], v[6:7], v[8:9]
	v_fma_f64 v[6:7], -v[13:14], v[6:7], v[0:1]
	v_dual_mov_b32 v8, v74 :: v_dual_mov_b32 v9, v75
                                        ; implicit-def: $vgpr0_vgpr1
.LBB0_21:
	s_wait_alu 0xfffe
	s_and_not1_saveexec_b32 s0, s1
	s_cbranch_execz .LBB0_23
; %bb.22:
	s_wait_dscnt 0x0
	v_add_f64_e32 v[4:5], v[0:1], v[2:3]
	v_add_f64_e64 v[6:7], v[0:1], -v[2:3]
	s_mov_b32 s4, 0
	v_mov_b32_e32 v8, 0
	s_wait_alu 0xfffe
	s_mov_b32 s5, s4
	s_wait_alu 0xfffe
	v_dual_mov_b32 v0, s4 :: v_dual_mov_b32 v1, s5
	v_mov_b32_e32 v9, 0
	ds_store_b64 v175, v[0:1] offset:8
	ds_store_b64 v10, v[0:1] offset:17960
	ds_load_b64 v[0:1], v174 offset:8984
	s_wait_dscnt 0x0
	v_xor_b32_e32 v1, 0x80000000, v1
	ds_store_b64 v174, v[0:1] offset:8984
.LBB0_23:
	s_wait_alu 0xfffe
	s_or_b32 exec_lo, exec_lo, s0
	s_wait_dscnt 0x0
	v_lshlrev_b64_e32 v[0:1], 4, v[8:9]
	s_add_nc_u64 s[0:1], s[8:9], 0x4510
	s_wait_alu 0xfffe
	s_delay_alu instid0(VALU_DEP_1) | instskip(SKIP_1) | instid1(VALU_DEP_2)
	v_add_co_u32 v0, s0, s0, v0
	s_wait_alu 0xf1ff
	v_add_co_ci_u32_e64 v1, s0, s1, v1, s0
	s_mov_b32 s1, exec_lo
	s_clause 0x1
	global_load_b128 v[11:14], v[0:1], off offset:1632
	global_load_b128 v[15:18], v[0:1], off offset:3264
	ds_store_b64 v175, v[4:5]
	ds_store_b64 v10, v[6:7] offset:17952
	ds_load_b128 v[2:5], v175 offset:1632
	ds_load_b128 v[6:9], v10 offset:16320
	s_wait_dscnt 0x0
	v_add_f64_e64 v[19:20], v[2:3], -v[6:7]
	v_add_f64_e32 v[21:22], v[4:5], v[8:9]
	v_add_f64_e64 v[4:5], v[4:5], -v[8:9]
	v_add_f64_e32 v[2:3], v[2:3], v[6:7]
	s_delay_alu instid0(VALU_DEP_4) | instskip(NEXT) | instid1(VALU_DEP_4)
	v_mul_f64_e32 v[8:9], 0.5, v[19:20]
	v_mul_f64_e32 v[19:20], 0.5, v[21:22]
	s_delay_alu instid0(VALU_DEP_4) | instskip(SKIP_1) | instid1(VALU_DEP_3)
	v_mul_f64_e32 v[4:5], 0.5, v[4:5]
	s_wait_loadcnt 0x1
	v_mul_f64_e32 v[6:7], v[8:9], v[13:14]
	s_delay_alu instid0(VALU_DEP_2) | instskip(SKIP_1) | instid1(VALU_DEP_3)
	v_fma_f64 v[21:22], v[19:20], v[13:14], v[4:5]
	v_fma_f64 v[13:14], v[19:20], v[13:14], -v[4:5]
	v_fma_f64 v[23:24], v[2:3], 0.5, v[6:7]
	v_fma_f64 v[6:7], v[2:3], 0.5, -v[6:7]
	s_delay_alu instid0(VALU_DEP_4) | instskip(NEXT) | instid1(VALU_DEP_4)
	v_fma_f64 v[4:5], -v[11:12], v[8:9], v[21:22]
	v_fma_f64 v[8:9], -v[11:12], v[8:9], v[13:14]
	s_delay_alu instid0(VALU_DEP_4) | instskip(NEXT) | instid1(VALU_DEP_4)
	v_fma_f64 v[2:3], v[19:20], v[11:12], v[23:24]
	v_fma_f64 v[6:7], -v[19:20], v[11:12], v[6:7]
	global_load_b128 v[11:14], v[0:1], off offset:4896
	ds_store_b128 v175, v[2:5] offset:1632
	ds_store_b128 v10, v[6:9] offset:16320
	ds_load_b128 v[2:5], v175 offset:3264
	ds_load_b128 v[6:9], v10 offset:14688
	s_wait_dscnt 0x0
	v_add_f64_e64 v[19:20], v[2:3], -v[6:7]
	v_add_f64_e32 v[21:22], v[4:5], v[8:9]
	v_add_f64_e64 v[4:5], v[4:5], -v[8:9]
	v_add_f64_e32 v[2:3], v[2:3], v[6:7]
	s_delay_alu instid0(VALU_DEP_4) | instskip(NEXT) | instid1(VALU_DEP_4)
	v_mul_f64_e32 v[8:9], 0.5, v[19:20]
	v_mul_f64_e32 v[19:20], 0.5, v[21:22]
	s_delay_alu instid0(VALU_DEP_4) | instskip(SKIP_1) | instid1(VALU_DEP_3)
	v_mul_f64_e32 v[4:5], 0.5, v[4:5]
	s_wait_loadcnt 0x1
	v_mul_f64_e32 v[6:7], v[8:9], v[17:18]
	s_delay_alu instid0(VALU_DEP_2) | instskip(SKIP_1) | instid1(VALU_DEP_3)
	v_fma_f64 v[21:22], v[19:20], v[17:18], v[4:5]
	v_fma_f64 v[17:18], v[19:20], v[17:18], -v[4:5]
	v_fma_f64 v[23:24], v[2:3], 0.5, v[6:7]
	v_fma_f64 v[6:7], v[2:3], 0.5, -v[6:7]
	s_delay_alu instid0(VALU_DEP_4) | instskip(NEXT) | instid1(VALU_DEP_4)
	v_fma_f64 v[4:5], -v[15:16], v[8:9], v[21:22]
	v_fma_f64 v[8:9], -v[15:16], v[8:9], v[17:18]
	s_delay_alu instid0(VALU_DEP_4) | instskip(NEXT) | instid1(VALU_DEP_4)
	v_fma_f64 v[2:3], v[19:20], v[15:16], v[23:24]
	v_fma_f64 v[6:7], -v[19:20], v[15:16], v[6:7]
	global_load_b128 v[15:18], v[0:1], off offset:6528
	ds_store_b128 v175, v[2:5] offset:3264
	ds_store_b128 v10, v[6:9] offset:14688
	ds_load_b128 v[2:5], v175 offset:4896
	ds_load_b128 v[6:9], v10 offset:13056
	s_wait_dscnt 0x0
	v_add_f64_e64 v[19:20], v[2:3], -v[6:7]
	v_add_f64_e32 v[21:22], v[4:5], v[8:9]
	v_add_f64_e64 v[4:5], v[4:5], -v[8:9]
	v_add_f64_e32 v[2:3], v[2:3], v[6:7]
	s_delay_alu instid0(VALU_DEP_4) | instskip(NEXT) | instid1(VALU_DEP_4)
	v_mul_f64_e32 v[8:9], 0.5, v[19:20]
	v_mul_f64_e32 v[19:20], 0.5, v[21:22]
	s_delay_alu instid0(VALU_DEP_4) | instskip(SKIP_1) | instid1(VALU_DEP_3)
	v_mul_f64_e32 v[4:5], 0.5, v[4:5]
	s_wait_loadcnt 0x1
	v_mul_f64_e32 v[6:7], v[8:9], v[13:14]
	s_delay_alu instid0(VALU_DEP_2) | instskip(SKIP_1) | instid1(VALU_DEP_3)
	v_fma_f64 v[21:22], v[19:20], v[13:14], v[4:5]
	v_fma_f64 v[13:14], v[19:20], v[13:14], -v[4:5]
	v_fma_f64 v[23:24], v[2:3], 0.5, v[6:7]
	v_fma_f64 v[6:7], v[2:3], 0.5, -v[6:7]
	s_delay_alu instid0(VALU_DEP_4) | instskip(NEXT) | instid1(VALU_DEP_4)
	v_fma_f64 v[4:5], -v[11:12], v[8:9], v[21:22]
	v_fma_f64 v[8:9], -v[11:12], v[8:9], v[13:14]
	s_delay_alu instid0(VALU_DEP_4) | instskip(NEXT) | instid1(VALU_DEP_4)
	v_fma_f64 v[2:3], v[19:20], v[11:12], v[23:24]
	v_fma_f64 v[6:7], -v[19:20], v[11:12], v[6:7]
	ds_store_b128 v175, v[2:5] offset:4896
	ds_store_b128 v10, v[6:9] offset:13056
	ds_load_b128 v[2:5], v175 offset:6528
	ds_load_b128 v[6:9], v10 offset:11424
	s_wait_dscnt 0x0
	v_add_f64_e64 v[11:12], v[2:3], -v[6:7]
	v_add_f64_e32 v[13:14], v[4:5], v[8:9]
	v_add_f64_e64 v[4:5], v[4:5], -v[8:9]
	v_add_f64_e32 v[2:3], v[2:3], v[6:7]
	s_delay_alu instid0(VALU_DEP_4) | instskip(NEXT) | instid1(VALU_DEP_4)
	v_mul_f64_e32 v[8:9], 0.5, v[11:12]
	v_mul_f64_e32 v[11:12], 0.5, v[13:14]
	s_delay_alu instid0(VALU_DEP_4) | instskip(SKIP_1) | instid1(VALU_DEP_3)
	v_mul_f64_e32 v[4:5], 0.5, v[4:5]
	s_wait_loadcnt 0x0
	v_mul_f64_e32 v[6:7], v[8:9], v[17:18]
	s_delay_alu instid0(VALU_DEP_2) | instskip(SKIP_1) | instid1(VALU_DEP_3)
	v_fma_f64 v[13:14], v[11:12], v[17:18], v[4:5]
	v_fma_f64 v[17:18], v[11:12], v[17:18], -v[4:5]
	v_fma_f64 v[19:20], v[2:3], 0.5, v[6:7]
	v_fma_f64 v[6:7], v[2:3], 0.5, -v[6:7]
	s_delay_alu instid0(VALU_DEP_4) | instskip(NEXT) | instid1(VALU_DEP_4)
	v_fma_f64 v[4:5], -v[15:16], v[8:9], v[13:14]
	v_fma_f64 v[8:9], -v[15:16], v[8:9], v[17:18]
	s_delay_alu instid0(VALU_DEP_4) | instskip(NEXT) | instid1(VALU_DEP_4)
	v_fma_f64 v[2:3], v[11:12], v[15:16], v[19:20]
	v_fma_f64 v[6:7], -v[11:12], v[15:16], v[6:7]
	ds_store_b128 v175, v[2:5] offset:6528
	ds_store_b128 v10, v[6:9] offset:11424
	v_cmpx_gt_u32_e32 51, v74
	s_cbranch_execz .LBB0_25
; %bb.24:
	global_load_b128 v[0:3], v[0:1], off offset:8160
	ds_load_b128 v[4:7], v175 offset:8160
	ds_load_b128 v[11:14], v10 offset:9792
	s_wait_dscnt 0x0
	v_add_f64_e64 v[8:9], v[4:5], -v[11:12]
	v_add_f64_e32 v[15:16], v[6:7], v[13:14]
	v_add_f64_e64 v[6:7], v[6:7], -v[13:14]
	v_add_f64_e32 v[4:5], v[4:5], v[11:12]
	s_delay_alu instid0(VALU_DEP_4) | instskip(NEXT) | instid1(VALU_DEP_4)
	v_mul_f64_e32 v[8:9], 0.5, v[8:9]
	v_mul_f64_e32 v[13:14], 0.5, v[15:16]
	s_delay_alu instid0(VALU_DEP_4) | instskip(SKIP_1) | instid1(VALU_DEP_3)
	v_mul_f64_e32 v[6:7], 0.5, v[6:7]
	s_wait_loadcnt 0x0
	v_mul_f64_e32 v[11:12], v[8:9], v[2:3]
	s_delay_alu instid0(VALU_DEP_2) | instskip(SKIP_1) | instid1(VALU_DEP_3)
	v_fma_f64 v[15:16], v[13:14], v[2:3], v[6:7]
	v_fma_f64 v[2:3], v[13:14], v[2:3], -v[6:7]
	v_fma_f64 v[6:7], v[4:5], 0.5, v[11:12]
	v_fma_f64 v[11:12], v[4:5], 0.5, -v[11:12]
	s_delay_alu instid0(VALU_DEP_4) | instskip(NEXT) | instid1(VALU_DEP_4)
	v_fma_f64 v[4:5], -v[0:1], v[8:9], v[15:16]
	v_fma_f64 v[8:9], -v[0:1], v[8:9], v[2:3]
	s_delay_alu instid0(VALU_DEP_4) | instskip(NEXT) | instid1(VALU_DEP_4)
	v_fma_f64 v[2:3], v[13:14], v[0:1], v[6:7]
	v_fma_f64 v[6:7], -v[13:14], v[0:1], v[11:12]
	ds_store_b128 v175, v[2:5] offset:8160
	ds_store_b128 v10, v[6:9] offset:9792
.LBB0_25:
	s_wait_alu 0xfffe
	s_or_b32 exec_lo, exec_lo, s1
	global_wb scope:SCOPE_SE
	s_wait_dscnt 0x0
	s_barrier_signal -1
	s_barrier_wait -1
	global_inv scope:SCOPE_SE
	s_and_saveexec_b32 s0, vcc_lo
	s_cbranch_execz .LBB0_28
; %bb.26:
	v_mul_lo_u32 v2, s3, v76
	v_mul_lo_u32 v3, s2, v77
	v_mad_co_u64_u32 v[0:1], null, s2, v76, 0
	v_mov_b32_e32 v75, 0
	v_lshlrev_b64_e32 v[11:12], 4, v[72:73]
	v_add_nc_u32_e32 v13, 0x66, v74
	v_add_nc_u32_e32 v25, 0x1fe, v74
	s_delay_alu instid0(VALU_DEP_4)
	v_dual_mov_b32 v28, v75 :: v_dual_add_nc_u32 v27, 0x264, v74
	v_add3_u32 v1, v1, v3, v2
	v_lshl_add_u32 v2, v74, 4, v174
	v_mov_b32_e32 v14, v75
	ds_load_b128 v[3:6], v2
	ds_load_b128 v[7:10], v2 offset:1632
	v_lshlrev_b64_e32 v[0:1], 4, v[0:1]
	v_lshlrev_b64_e32 v[15:16], 4, v[74:75]
	v_dual_mov_b32 v26, v75 :: v_dual_add_nc_u32 v31, 0x3fc, v74
	v_mov_b32_e32 v32, v75
	s_delay_alu instid0(VALU_DEP_4) | instskip(SKIP_3) | instid1(VALU_DEP_3)
	v_add_co_u32 v0, vcc_lo, s6, v0
	s_wait_alu 0xfffd
	v_add_co_ci_u32_e32 v1, vcc_lo, s7, v1, vcc_lo
	v_lshlrev_b64_e32 v[25:26], 4, v[25:26]
	v_add_co_u32 v0, vcc_lo, v0, v11
	s_wait_alu 0xfffd
	s_delay_alu instid0(VALU_DEP_3) | instskip(SKIP_1) | instid1(VALU_DEP_3)
	v_add_co_ci_u32_e32 v1, vcc_lo, v1, v12, vcc_lo
	v_lshlrev_b64_e32 v[11:12], 4, v[13:14]
	v_add_co_u32 v13, vcc_lo, v0, v15
	s_wait_alu 0xfffd
	s_delay_alu instid0(VALU_DEP_3) | instskip(SKIP_1) | instid1(VALU_DEP_4)
	v_add_co_ci_u32_e32 v14, vcc_lo, v1, v16, vcc_lo
	v_dual_mov_b32 v16, v75 :: v_dual_add_nc_u32 v15, 0xcc, v74
	v_add_co_u32 v11, vcc_lo, v0, v11
	s_wait_alu 0xfffd
	v_add_co_ci_u32_e32 v12, vcc_lo, v1, v12, vcc_lo
	s_wait_dscnt 0x1
	global_store_b128 v[13:14], v[3:6], off
	s_wait_dscnt 0x0
	global_store_b128 v[11:12], v[7:10], off
	v_lshlrev_b64_e32 v[3:4], 4, v[15:16]
	v_dual_mov_b32 v12, v75 :: v_dual_add_nc_u32 v11, 0x132, v74
	v_dual_mov_b32 v14, v75 :: v_dual_add_nc_u32 v13, 0x198, v74
	v_lshlrev_b64_e32 v[31:32], 4, v[31:32]
	s_delay_alu instid0(VALU_DEP_4)
	v_add_co_u32 v19, vcc_lo, v0, v3
	s_wait_alu 0xfffd
	v_add_co_ci_u32_e32 v20, vcc_lo, v1, v4, vcc_lo
	ds_load_b128 v[3:6], v2 offset:3264
	ds_load_b128 v[7:10], v2 offset:4896
	v_lshlrev_b64_e32 v[21:22], 4, v[11:12]
	v_lshlrev_b64_e32 v[23:24], 4, v[13:14]
	ds_load_b128 v[11:14], v2 offset:6528
	ds_load_b128 v[15:18], v2 offset:8160
	v_add_co_u32 v21, vcc_lo, v0, v21
	s_wait_alu 0xfffd
	v_add_co_ci_u32_e32 v22, vcc_lo, v1, v22, vcc_lo
	v_add_co_u32 v23, vcc_lo, v0, v23
	s_wait_alu 0xfffd
	v_add_co_ci_u32_e32 v24, vcc_lo, v1, v24, vcc_lo
	;; [unrolled: 3-line block ×3, first 2 shown]
	s_wait_dscnt 0x3
	global_store_b128 v[19:20], v[3:6], off
	s_wait_dscnt 0x2
	global_store_b128 v[21:22], v[7:10], off
	;; [unrolled: 2-line block ×4, first 2 shown]
	v_dual_mov_b32 v12, v75 :: v_dual_add_nc_u32 v11, 0x2ca, v74
	v_lshlrev_b64_e32 v[3:4], 4, v[27:28]
	v_dual_mov_b32 v14, v75 :: v_dual_add_nc_u32 v13, 0x330, v74
	v_dual_mov_b32 v20, v75 :: v_dual_add_nc_u32 v19, 0x396, v74
	s_delay_alu instid0(VALU_DEP_4) | instskip(NEXT) | instid1(VALU_DEP_4)
	v_lshlrev_b64_e32 v[11:12], 4, v[11:12]
	v_add_co_u32 v23, vcc_lo, v0, v3
	s_wait_alu 0xfffd
	v_add_co_ci_u32_e32 v24, vcc_lo, v1, v4, vcc_lo
	ds_load_b128 v[3:6], v2 offset:9792
	ds_load_b128 v[7:10], v2 offset:11424
	v_add_co_u32 v25, vcc_lo, v0, v11
	s_wait_alu 0xfffd
	v_add_co_ci_u32_e32 v26, vcc_lo, v1, v12, vcc_lo
	v_lshlrev_b64_e32 v[27:28], 4, v[13:14]
	ds_load_b128 v[11:14], v2 offset:13056
	ds_load_b128 v[15:18], v2 offset:14688
	v_lshlrev_b64_e32 v[29:30], 4, v[19:20]
	ds_load_b128 v[19:22], v2 offset:16320
	v_add_co_u32 v27, vcc_lo, v0, v27
	s_wait_alu 0xfffd
	v_add_co_ci_u32_e32 v28, vcc_lo, v1, v28, vcc_lo
	v_add_co_u32 v29, vcc_lo, v0, v29
	s_wait_alu 0xfffd
	v_add_co_ci_u32_e32 v30, vcc_lo, v1, v30, vcc_lo
	;; [unrolled: 3-line block ×3, first 2 shown]
	v_cmp_eq_u32_e32 vcc_lo, 0x65, v74
	s_wait_dscnt 0x4
	global_store_b128 v[23:24], v[3:6], off
	s_wait_dscnt 0x3
	global_store_b128 v[25:26], v[7:10], off
	;; [unrolled: 2-line block ×5, first 2 shown]
	s_and_b32 exec_lo, exec_lo, vcc_lo
	s_cbranch_execz .LBB0_28
; %bb.27:
	ds_load_b128 v[2:5], v2 offset:16336
	s_wait_dscnt 0x0
	global_store_b128 v[0:1], v[2:5], off offset:17952
.LBB0_28:
	s_nop 0
	s_sendmsg sendmsg(MSG_DEALLOC_VGPRS)
	s_endpgm
	.section	.rodata,"a",@progbits
	.p2align	6, 0x0
	.amdhsa_kernel fft_rtc_fwd_len1122_factors_17_11_6_wgs_204_tpt_102_halfLds_dp_op_CI_CI_unitstride_sbrr_R2C_dirReg
		.amdhsa_group_segment_fixed_size 0
		.amdhsa_private_segment_fixed_size 0
		.amdhsa_kernarg_size 104
		.amdhsa_user_sgpr_count 2
		.amdhsa_user_sgpr_dispatch_ptr 0
		.amdhsa_user_sgpr_queue_ptr 0
		.amdhsa_user_sgpr_kernarg_segment_ptr 1
		.amdhsa_user_sgpr_dispatch_id 0
		.amdhsa_user_sgpr_private_segment_size 0
		.amdhsa_wavefront_size32 1
		.amdhsa_uses_dynamic_stack 0
		.amdhsa_enable_private_segment 0
		.amdhsa_system_sgpr_workgroup_id_x 1
		.amdhsa_system_sgpr_workgroup_id_y 0
		.amdhsa_system_sgpr_workgroup_id_z 0
		.amdhsa_system_sgpr_workgroup_info 0
		.amdhsa_system_vgpr_workitem_id 0
		.amdhsa_next_free_vgpr 240
		.amdhsa_next_free_sgpr 56
		.amdhsa_reserve_vcc 1
		.amdhsa_float_round_mode_32 0
		.amdhsa_float_round_mode_16_64 0
		.amdhsa_float_denorm_mode_32 3
		.amdhsa_float_denorm_mode_16_64 3
		.amdhsa_fp16_overflow 0
		.amdhsa_workgroup_processor_mode 1
		.amdhsa_memory_ordered 1
		.amdhsa_forward_progress 0
		.amdhsa_round_robin_scheduling 0
		.amdhsa_exception_fp_ieee_invalid_op 0
		.amdhsa_exception_fp_denorm_src 0
		.amdhsa_exception_fp_ieee_div_zero 0
		.amdhsa_exception_fp_ieee_overflow 0
		.amdhsa_exception_fp_ieee_underflow 0
		.amdhsa_exception_fp_ieee_inexact 0
		.amdhsa_exception_int_div_zero 0
	.end_amdhsa_kernel
	.text
.Lfunc_end0:
	.size	fft_rtc_fwd_len1122_factors_17_11_6_wgs_204_tpt_102_halfLds_dp_op_CI_CI_unitstride_sbrr_R2C_dirReg, .Lfunc_end0-fft_rtc_fwd_len1122_factors_17_11_6_wgs_204_tpt_102_halfLds_dp_op_CI_CI_unitstride_sbrr_R2C_dirReg
                                        ; -- End function
	.section	.AMDGPU.csdata,"",@progbits
; Kernel info:
; codeLenInByte = 12636
; NumSgprs: 58
; NumVgprs: 240
; ScratchSize: 0
; MemoryBound: 0
; FloatMode: 240
; IeeeMode: 1
; LDSByteSize: 0 bytes/workgroup (compile time only)
; SGPRBlocks: 7
; VGPRBlocks: 29
; NumSGPRsForWavesPerEU: 58
; NumVGPRsForWavesPerEU: 240
; Occupancy: 6
; WaveLimiterHint : 1
; COMPUTE_PGM_RSRC2:SCRATCH_EN: 0
; COMPUTE_PGM_RSRC2:USER_SGPR: 2
; COMPUTE_PGM_RSRC2:TRAP_HANDLER: 0
; COMPUTE_PGM_RSRC2:TGID_X_EN: 1
; COMPUTE_PGM_RSRC2:TGID_Y_EN: 0
; COMPUTE_PGM_RSRC2:TGID_Z_EN: 0
; COMPUTE_PGM_RSRC2:TIDIG_COMP_CNT: 0
	.text
	.p2alignl 7, 3214868480
	.fill 96, 4, 3214868480
	.type	__hip_cuid_1bc10d8192c72b09,@object ; @__hip_cuid_1bc10d8192c72b09
	.section	.bss,"aw",@nobits
	.globl	__hip_cuid_1bc10d8192c72b09
__hip_cuid_1bc10d8192c72b09:
	.byte	0                               ; 0x0
	.size	__hip_cuid_1bc10d8192c72b09, 1

	.ident	"AMD clang version 19.0.0git (https://github.com/RadeonOpenCompute/llvm-project roc-6.4.0 25133 c7fe45cf4b819c5991fe208aaa96edf142730f1d)"
	.section	".note.GNU-stack","",@progbits
	.addrsig
	.addrsig_sym __hip_cuid_1bc10d8192c72b09
	.amdgpu_metadata
---
amdhsa.kernels:
  - .args:
      - .actual_access:  read_only
        .address_space:  global
        .offset:         0
        .size:           8
        .value_kind:     global_buffer
      - .offset:         8
        .size:           8
        .value_kind:     by_value
      - .actual_access:  read_only
        .address_space:  global
        .offset:         16
        .size:           8
        .value_kind:     global_buffer
      - .actual_access:  read_only
        .address_space:  global
        .offset:         24
        .size:           8
        .value_kind:     global_buffer
      - .actual_access:  read_only
        .address_space:  global
        .offset:         32
        .size:           8
        .value_kind:     global_buffer
      - .offset:         40
        .size:           8
        .value_kind:     by_value
      - .actual_access:  read_only
        .address_space:  global
        .offset:         48
        .size:           8
        .value_kind:     global_buffer
      - .actual_access:  read_only
        .address_space:  global
        .offset:         56
        .size:           8
        .value_kind:     global_buffer
      - .offset:         64
        .size:           4
        .value_kind:     by_value
      - .actual_access:  read_only
        .address_space:  global
        .offset:         72
        .size:           8
        .value_kind:     global_buffer
      - .actual_access:  read_only
        .address_space:  global
        .offset:         80
        .size:           8
        .value_kind:     global_buffer
      - .actual_access:  read_only
        .address_space:  global
        .offset:         88
        .size:           8
        .value_kind:     global_buffer
      - .actual_access:  write_only
        .address_space:  global
        .offset:         96
        .size:           8
        .value_kind:     global_buffer
    .group_segment_fixed_size: 0
    .kernarg_segment_align: 8
    .kernarg_segment_size: 104
    .language:       OpenCL C
    .language_version:
      - 2
      - 0
    .max_flat_workgroup_size: 204
    .name:           fft_rtc_fwd_len1122_factors_17_11_6_wgs_204_tpt_102_halfLds_dp_op_CI_CI_unitstride_sbrr_R2C_dirReg
    .private_segment_fixed_size: 0
    .sgpr_count:     58
    .sgpr_spill_count: 0
    .symbol:         fft_rtc_fwd_len1122_factors_17_11_6_wgs_204_tpt_102_halfLds_dp_op_CI_CI_unitstride_sbrr_R2C_dirReg.kd
    .uniform_work_group_size: 1
    .uses_dynamic_stack: false
    .vgpr_count:     240
    .vgpr_spill_count: 0
    .wavefront_size: 32
    .workgroup_processor_mode: 1
amdhsa.target:   amdgcn-amd-amdhsa--gfx1201
amdhsa.version:
  - 1
  - 2
...

	.end_amdgpu_metadata
